;; amdgpu-corpus repo=ROCm/rocFFT kind=compiled arch=gfx1201 opt=O3
	.text
	.amdgcn_target "amdgcn-amd-amdhsa--gfx1201"
	.amdhsa_code_object_version 6
	.protected	bluestein_single_back_len3840_dim1_sp_op_CI_CI ; -- Begin function bluestein_single_back_len3840_dim1_sp_op_CI_CI
	.globl	bluestein_single_back_len3840_dim1_sp_op_CI_CI
	.p2align	8
	.type	bluestein_single_back_len3840_dim1_sp_op_CI_CI,@function
bluestein_single_back_len3840_dim1_sp_op_CI_CI: ; @bluestein_single_back_len3840_dim1_sp_op_CI_CI
; %bb.0:
	s_load_b128 s[16:19], s[0:1], 0x28
	v_mov_b32_e32 v200, v0
	s_mov_b32 s2, ttmp9
	s_mov_b32 s3, 0
	s_mov_b32 s5, exec_lo
	s_wait_kmcnt 0x0
	v_cmpx_lt_u64_e64 s[2:3], s[16:17]
	s_cbranch_execz .LBB0_2
; %bb.1:
	s_clause 0x1
	s_load_b128 s[4:7], s[0:1], 0x18
	s_load_b128 s[8:11], s[0:1], 0x0
	v_dual_mov_b32 v5, s3 :: v_dual_mov_b32 v4, s2
	v_lshlrev_b32_e32 v149, 3, v200
	s_load_b64 s[0:1], s[0:1], 0x38
	scratch_store_b64 off, v[4:5], off      ; 8-byte Folded Spill
	s_wait_kmcnt 0x0
	s_load_b128 s[12:15], s[4:5], 0x0
	s_wait_kmcnt 0x0
	v_mad_co_u64_u32 v[0:1], null, s14, v4, 0
	v_mad_co_u64_u32 v[2:3], null, s12, v200, 0
	s_mul_i32 s4, s13, 0xffff9800
	s_mul_u64 s[2:3], s[12:13], 0xc00
	s_sub_co_i32 s4, s4, s12
	s_delay_alu instid0(VALU_DEP_1) | instskip(NEXT) | instid1(VALU_DEP_1)
	v_mad_co_u64_u32 v[4:5], null, s15, v4, v[1:2]
	v_mad_co_u64_u32 v[5:6], null, s13, v200, v[3:4]
	v_mov_b32_e32 v1, v4
	s_delay_alu instid0(VALU_DEP_1) | instskip(NEXT) | instid1(VALU_DEP_3)
	v_lshlrev_b64_e32 v[0:1], 3, v[0:1]
	v_mov_b32_e32 v3, v5
	s_delay_alu instid0(VALU_DEP_2) | instskip(NEXT) | instid1(VALU_DEP_2)
	v_add_co_u32 v0, vcc_lo, s18, v0
	v_lshlrev_b64_e32 v[2:3], 3, v[2:3]
	s_delay_alu instid0(VALU_DEP_4) | instskip(NEXT) | instid1(VALU_DEP_2)
	v_add_co_ci_u32_e32 v1, vcc_lo, s19, v1, vcc_lo
	v_add_co_u32 v7, vcc_lo, v0, v2
	s_wait_alu 0xfffd
	s_delay_alu instid0(VALU_DEP_2) | instskip(SKIP_1) | instid1(VALU_DEP_2)
	v_add_co_ci_u32_e32 v8, vcc_lo, v1, v3, vcc_lo
	s_wait_alu 0xfffe
	v_add_co_u32 v9, vcc_lo, v7, s2
	s_wait_alu 0xfffd
	s_delay_alu instid0(VALU_DEP_2)
	v_add_co_ci_u32_e32 v10, vcc_lo, s3, v8, vcc_lo
	global_load_b64 v[7:8], v[7:8], off
	global_load_b64 v[33:34], v149, s[8:9]
	v_add_co_u32 v11, vcc_lo, v9, s2
	s_wait_alu 0xfffd
	v_add_co_ci_u32_e32 v12, vcc_lo, s3, v10, vcc_lo
	s_delay_alu instid0(VALU_DEP_2) | instskip(SKIP_1) | instid1(VALU_DEP_2)
	v_add_co_u32 v13, vcc_lo, v11, s2
	s_wait_alu 0xfffd
	v_add_co_ci_u32_e32 v14, vcc_lo, s3, v12, vcc_lo
	s_delay_alu instid0(VALU_DEP_2) | instskip(SKIP_1) | instid1(VALU_DEP_2)
	;; [unrolled: 4-line block ×7, first 2 shown]
	v_add_co_u32 v1, vcc_lo, v19, s2
	s_wait_alu 0xfffd
	v_add_co_ci_u32_e32 v2, vcc_lo, s3, v20, vcc_lo
	s_delay_alu instid0(VALU_DEP_1) | instskip(SKIP_1) | instid1(VALU_DEP_1)
	v_mad_co_u64_u32 v[21:22], null, 0xffff9800, s12, v[1:2]
	s_wait_loadcnt 0x0
	v_dual_mov_b32 v35, v34 :: v_dual_add_nc_u32 v22, s4, v22
	v_mov_b32_e32 v34, v33
	s_delay_alu instid0(VALU_DEP_2)
	v_mul_f32_e32 v0, v7, v35
	global_load_b64 v[40:41], v149, s[8:9] offset:1024
	global_load_b64 v[23:24], v[21:22], off
	global_load_b64 v[42:43], v149, s[8:9] offset:6144
	global_load_b64 v[11:12], v[11:12], off
	v_add_co_u32 v21, vcc_lo, v21, s2
	s_wait_alu 0xfffd
	v_add_co_ci_u32_e32 v22, vcc_lo, s3, v22, vcc_lo
	s_delay_alu instid0(VALU_DEP_2) | instskip(SKIP_1) | instid1(VALU_DEP_2)
	v_add_co_u32 v25, vcc_lo, v21, s2
	s_wait_alu 0xfffd
	v_add_co_ci_u32_e32 v26, vcc_lo, s3, v22, vcc_lo
	global_load_b64 v[54:55], v149, s[8:9] offset:7168
	global_load_b64 v[27:28], v[25:26], off
	global_load_b64 v[56:57], v149, s[8:9] offset:12288
	global_load_b64 v[15:16], v[15:16], off
	v_add_co_u32 v25, vcc_lo, v25, s2
	s_wait_alu 0xfffd
	v_add_co_ci_u32_e32 v26, vcc_lo, s3, v26, vcc_lo
	v_mul_f32_e32 v33, v8, v35
	s_delay_alu instid0(VALU_DEP_3) | instskip(SKIP_1) | instid1(VALU_DEP_3)
	v_add_co_u32 v29, vcc_lo, v25, s2
	s_wait_alu 0xfffd
	v_add_co_ci_u32_e32 v30, vcc_lo, s3, v26, vcc_lo
	global_load_b64 v[52:53], v149, s[8:9] offset:13312
	global_load_b64 v[31:32], v[29:30], off
	global_load_b64 v[50:51], v149, s[8:9] offset:3072
	s_clause 0x1
	global_load_b64 v[13:14], v[13:14], off
	global_load_b64 v[9:10], v[9:10], off
	s_clause 0x4
	global_load_b64 v[62:63], v149, s[8:9] offset:18432
	global_load_b64 v[60:61], v149, s[8:9] offset:19456
	;; [unrolled: 1-line block ×5, first 2 shown]
	global_load_b64 v[17:18], v[17:18], off
	global_load_b64 v[19:20], v[19:20], off
	v_add_co_u32 v29, vcc_lo, v29, s2
	s_wait_alu 0xfffd
	v_add_co_ci_u32_e32 v30, vcc_lo, s3, v30, vcc_lo
	scratch_store_b64 off, v[34:35], off offset:240 ; 8-byte Folded Spill
	v_add_co_u32 v35, vcc_lo, v29, s2
	v_fmac_f32_e32 v33, v7, v34
	v_fma_f32 v34, v8, v34, -v0
	s_wait_alu 0xfffd
	v_add_co_ci_u32_e32 v36, vcc_lo, s3, v30, vcc_lo
	v_add_co_u32 v37, vcc_lo, v35, s2
	global_load_b64 v[48:49], v149, s[8:9] offset:4096
	s_wait_alu 0xfffd
	v_add_co_ci_u32_e32 v38, vcc_lo, s3, v36, vcc_lo
	global_load_b64 v[35:36], v[35:36], off
	global_load_b64 v[21:22], v[21:22], off
	s_wait_loadcnt 0x16
	scratch_store_b64 off, v[40:41], off offset:200 ; 8-byte Folded Spill
	s_wait_loadcnt 0x15
	v_mul_f32_e32 v7, v24, v41
	v_mul_f32_e32 v0, v23, v41
	s_wait_loadcnt 0x13
	v_mul_f32_e32 v39, v11, v43
	scratch_store_b64 off, v[42:43], off offset:192 ; 8-byte Folded Spill
	v_fma_f32 v8, v24, v40, -v0
	v_fma_f32 v24, v12, v42, -v39
	s_wait_loadcnt 0x11
	v_mul_f32_e32 v0, v27, v55
	v_fmac_f32_e32 v7, v23, v40
	v_mul_f32_e32 v23, v12, v43
	global_load_b64 v[39:40], v149, s[8:9] offset:14336
	s_wait_loadcnt 0x11
	scratch_store_b64 off, v[56:57], off offset:224 ; 8-byte Folded Spill
	ds_store_2addr_stride64_b64 v149, v[33:34], v[7:8] offset1:2
	v_fmac_f32_e32 v23, v11, v42
	v_add_co_u32 v11, vcc_lo, v37, s2
	v_mul_f32_e32 v7, v28, v55
	s_wait_alu 0xfffd
	v_add_co_ci_u32_e32 v12, vcc_lo, s3, v38, vcc_lo
	v_fma_f32 v8, v28, v54, -v0
	global_load_b64 v[41:42], v149, s[8:9] offset:25600
	v_fmac_f32_e32 v7, v27, v54
	global_load_b64 v[27:28], v[11:12], off
	s_wait_loadcnt 0x12
	v_mul_f32_e32 v0, v15, v57
	v_add_co_u32 v11, vcc_lo, v11, s2
	ds_store_2addr_stride64_b64 v149, v[23:24], v[7:8] offset0:12 offset1:14
	v_mul_f32_e32 v7, v16, v57
	v_fma_f32 v8, v16, v56, -v0
	s_wait_loadcnt 0x10
	v_mul_f32_e32 v0, v31, v53
	s_wait_alu 0xfffd
	v_add_co_ci_u32_e32 v12, vcc_lo, s3, v12, vcc_lo
	v_fmac_f32_e32 v7, v15, v56
	v_mul_f32_e32 v15, v32, v53
	v_fma_f32 v16, v32, v52, -v0
	s_wait_loadcnt 0xd
	v_mul_f32_e32 v0, v9, v51
	global_load_b64 v[33:34], v149, s[8:9] offset:17408
	s_wait_loadcnt 0xd
	scratch_store_b64 off, v[62:63], off offset:216 ; 8-byte Folded Spill
	v_fmac_f32_e32 v15, v31, v52
	global_load_b64 v[31:32], v149, s[8:9] offset:26624
	scratch_store_b64 off, v[54:55], off offset:184 ; 8-byte Folded Spill
	s_wait_loadcnt 0xc
	s_clause 0x1
	scratch_store_b64 off, v[58:59], off offset:208
	scratch_store_b64 off, v[52:53], off offset:176
	ds_store_2addr_stride64_b64 v149, v[7:8], v[15:16] offset0:24 offset1:26
	v_mul_f32_e32 v7, v10, v51
	v_fma_f32 v8, v10, v50, -v0
	s_wait_loadcnt 0x9
	v_mul_f32_e32 v0, v17, v63
	s_wait_loadcnt 0x8
	v_mul_f32_e32 v15, v20, v59
	scratch_store_b64 off, v[60:61], off offset:232 ; 8-byte Folded Spill
	v_fmac_f32_e32 v7, v9, v50
	v_mul_f32_e32 v9, v18, v63
	v_fma_f32 v10, v18, v62, -v0
	v_mul_f32_e32 v0, v19, v59
	v_fmac_f32_e32 v15, v19, v58
	scratch_store_b64 off, v[46:47], off offset:160 ; 8-byte Folded Spill
	v_fmac_f32_e32 v9, v17, v62
	s_wait_loadcnt 0x6
	v_mul_f32_e32 v17, v36, v61
	v_fma_f32 v16, v20, v58, -v0
	v_mul_f32_e32 v0, v35, v61
	v_mad_co_u64_u32 v[19:20], null, 0xffff9800, s12, v[11:12]
	s_delay_alu instid0(VALU_DEP_4)
	v_fmac_f32_e32 v17, v35, v60
	scratch_store_b64 off, v[44:45], off offset:128 ; 8-byte Folded Spill
	v_fma_f32 v18, v36, v60, -v0
	v_add_nc_u32_e32 v20, s4, v20
	ds_store_2addr_stride64_b64 v149, v[9:10], v[17:18] offset0:36 offset1:38
	s_wait_loadcnt 0x3
	scratch_store_b64 off, v[41:42], off offset:168 ; 8-byte Folded Spill
	s_wait_loadcnt 0x2
	v_mul_f32_e32 v18, v27, v42
	v_mul_f32_e32 v17, v28, v42
	s_delay_alu instid0(VALU_DEP_2) | instskip(NEXT) | instid1(VALU_DEP_2)
	v_fma_f32 v18, v28, v41, -v18
	v_fmac_f32_e32 v17, v27, v41
	global_load_b64 v[41:42], v149, s[8:9] offset:9216
	v_mul_f32_e32 v9, v22, v49
	v_mul_f32_e32 v0, v21, v49
	scratch_store_b64 off, v[48:49], off offset:120 ; 8-byte Folded Spill
	ds_store_2addr_stride64_b64 v149, v[15:16], v[17:18] offset0:48 offset1:50
	scratch_store_b64 off, v[50:51], off offset:152 ; 8-byte Folded Spill
	v_fmac_f32_e32 v9, v21, v48
	v_add_co_u32 v21, vcc_lo, v19, s2
	v_fma_f32 v10, v22, v48, -v0
	s_wait_alu 0xfffd
	v_add_co_ci_u32_e32 v22, vcc_lo, s3, v20, vcc_lo
	s_delay_alu instid0(VALU_DEP_3)
	v_add_co_u32 v23, vcc_lo, v21, s2
	global_load_b64 v[19:20], v[19:20], off
	s_wait_alu 0xfffd
	v_add_co_ci_u32_e32 v24, vcc_lo, s3, v22, vcc_lo
	global_load_b64 v[21:22], v[21:22], off
	s_wait_loadcnt 0x1
	v_mul_f32_e32 v0, v19, v47
	v_mul_f32_e32 v15, v20, v47
	s_wait_loadcnt 0x0
	v_mul_f32_e32 v17, v21, v45
	s_delay_alu instid0(VALU_DEP_3) | instskip(NEXT) | instid1(VALU_DEP_3)
	v_fma_f32 v16, v20, v46, -v0
	v_fmac_f32_e32 v15, v19, v46
	v_mul_f32_e32 v0, v13, v42
	s_delay_alu instid0(VALU_DEP_4)
	v_fma_f32 v18, v22, v44, -v17
	v_mul_f32_e32 v17, v22, v45
	ds_store_2addr_stride64_b64 v149, v[15:16], v[7:8] offset0:4 offset1:6
	v_fma_f32 v15, v14, v41, -v0
	v_dual_mul_f32 v14, v14, v42 :: v_dual_fmac_f32 v17, v21, v44
	s_clause 0x2
	global_load_b64 v[27:28], v149, s[8:9] offset:10240
	global_load_b64 v[20:21], v149, s[8:9] offset:11264
	;; [unrolled: 1-line block ×3, first 2 shown]
	global_load_b64 v[7:8], v[23:24], off
	global_load_b64 v[5:6], v[5:6], off
	v_fmac_f32_e32 v14, v13, v41
	ds_store_2addr_stride64_b64 v149, v[9:10], v[17:18] offset0:8 offset1:10
	v_add_co_u32 v9, vcc_lo, v23, s2
	s_wait_alu 0xfffd
	v_add_co_ci_u32_e32 v10, vcc_lo, s3, v24, vcc_lo
	global_load_b64 v[16:17], v[25:26], off
	s_wait_loadcnt 0x5
	scratch_store_b64 off, v[27:28], off offset:80 ; 8-byte Folded Spill
	s_wait_loadcnt 0x3
	scratch_store_b64 off, v[35:36], off offset:144 ; 8-byte Folded Spill
	s_wait_loadcnt 0x2
	v_mul_f32_e32 v0, v7, v36
	v_mul_f32_e32 v18, v8, v36
	s_delay_alu instid0(VALU_DEP_2) | instskip(NEXT) | instid1(VALU_DEP_2)
	v_fma_f32 v19, v8, v35, -v0
	v_fmac_f32_e32 v18, v7, v35
	global_load_b64 v[7:8], v[9:10], off
	s_wait_loadcnt 0x1
	v_mul_f32_e32 v0, v16, v28
	v_add_co_u32 v9, vcc_lo, v9, s2
	ds_store_2addr_stride64_b64 v149, v[18:19], v[14:15] offset0:16 offset1:18
	s_wait_alu 0xfffd
	v_add_co_ci_u32_e32 v10, vcc_lo, s3, v10, vcc_lo
	v_mul_f32_e32 v13, v17, v28
	v_fma_f32 v14, v17, v27, -v0
	global_load_b64 v[17:18], v149, s[8:9] offset:15360
	s_clause 0x1
	scratch_store_b64 off, v[20:21], off offset:88
	scratch_store_b64 off, v[41:42], off offset:136
	s_wait_loadcnt 0x1
	v_dual_fmac_f32 v13, v16, v27 :: v_dual_mul_f32 v0, v7, v21
	v_mul_f32_e32 v15, v8, v21
	s_delay_alu instid0(VALU_DEP_2) | instskip(NEXT) | instid1(VALU_DEP_2)
	v_fma_f32 v16, v8, v20, -v0
	v_fmac_f32_e32 v15, v7, v20
	global_load_b64 v[7:8], v[9:10], off
	v_add_co_u32 v9, vcc_lo, v9, s2
	s_wait_loadcnt 0x1
	v_mul_f32_e32 v0, v5, v18
	ds_store_2addr_stride64_b64 v149, v[13:14], v[15:16] offset0:20 offset1:22
	v_mul_f32_e32 v13, v6, v18
	scratch_store_b64 off, v[17:18], off offset:96 ; 8-byte Folded Spill
	global_load_b64 v[19:20], v149, s[8:9] offset:16384
	global_load_b64 v[15:16], v[29:30], off
	s_wait_alu 0xfffd
	v_add_co_ci_u32_e32 v10, vcc_lo, s3, v10, vcc_lo
	v_fma_f32 v14, v6, v17, -v0
	v_fmac_f32_e32 v13, v5, v17
	scratch_store_b64 off, v[39:40], off offset:104 ; 8-byte Folded Spill
	s_wait_loadcnt 0x2
	v_mul_f32_e32 v0, v7, v40
	v_mul_f32_e32 v5, v8, v40
	s_delay_alu instid0(VALU_DEP_2) | instskip(NEXT) | instid1(VALU_DEP_2)
	v_fma_f32 v6, v8, v39, -v0
	v_fmac_f32_e32 v5, v7, v39
	global_load_b64 v[7:8], v[9:10], off
	global_load_b64 v[3:4], v[3:4], off
	global_load_b64 v[17:18], v149, s[8:9] offset:21504
	s_wait_loadcnt 0x3
	v_mul_f32_e32 v0, v15, v20
	s_clause 0x1
	scratch_store_b64 off, v[19:20], off offset:112
	scratch_store_b64 off, v[33:34], off offset:72
	ds_store_2addr_stride64_b64 v149, v[5:6], v[13:14] offset0:28 offset1:30
	v_mul_f32_e32 v5, v16, v20
	v_fma_f32 v6, v16, v19, -v0
	s_delay_alu instid0(VALU_DEP_2) | instskip(SKIP_3) | instid1(VALU_DEP_2)
	v_fmac_f32_e32 v5, v15, v19
	s_wait_loadcnt 0x2
	v_mul_f32_e32 v0, v7, v34
	v_mul_f32_e32 v13, v8, v34
	v_fma_f32 v14, v8, v33, -v0
	s_delay_alu instid0(VALU_DEP_2)
	v_fmac_f32_e32 v13, v7, v33
	s_wait_loadcnt 0x0
	v_mul_f32_e32 v0, v3, v18
	v_mul_f32_e32 v7, v4, v18
	ds_store_2addr_stride64_b64 v149, v[5:6], v[13:14] offset0:32 offset1:34
	v_add_co_u32 v5, vcc_lo, v9, s2
	s_clause 0x1
	global_load_b64 v[13:14], v149, s[8:9] offset:22528
	global_load_b64 v[15:16], v149, s[8:9] offset:23552
	s_wait_alu 0xfffd
	v_add_co_ci_u32_e32 v6, vcc_lo, s3, v10, vcc_lo
	global_load_b64 v[9:10], v149, s[8:9] offset:20480
	v_fma_f32 v8, v4, v17, -v0
	v_fmac_f32_e32 v7, v3, v17
	global_load_b64 v[3:4], v[5:6], off
	scratch_store_b64 off, v[17:18], off offset:40 ; 8-byte Folded Spill
	v_add_co_u32 v5, vcc_lo, v5, s2
	s_wait_alu 0xfffd
	v_add_co_ci_u32_e32 v6, vcc_lo, s3, v6, vcc_lo
	s_wait_loadcnt 0x3
	scratch_store_b64 off, v[13:14], off offset:56 ; 8-byte Folded Spill
	s_wait_loadcnt 0x2
	scratch_store_b64 off, v[15:16], off offset:64 ; 8-byte Folded Spill
	s_wait_loadcnt 0x1
	v_dual_mov_b32 v18, v10 :: v_dual_mov_b32 v17, v9
	s_wait_loadcnt 0x0
	s_delay_alu instid0(VALU_DEP_1)
	v_mul_f32_e32 v0, v3, v18
	v_mul_f32_e32 v9, v4, v18
	scratch_store_b64 off, v[17:18], off offset:48 ; 8-byte Folded Spill
	v_fma_f32 v10, v4, v17, -v0
	v_fmac_f32_e32 v9, v3, v17
	global_load_b64 v[3:4], v[37:38], off
	ds_store_2addr_stride64_b64 v149, v[9:10], v[7:8] offset0:40 offset1:42
	s_wait_loadcnt 0x0
	v_mul_f32_e32 v0, v3, v14
	v_mul_f32_e32 v7, v4, v14
	s_delay_alu instid0(VALU_DEP_2) | instskip(NEXT) | instid1(VALU_DEP_2)
	v_fma_f32 v8, v4, v13, -v0
	v_fmac_f32_e32 v7, v3, v13
	global_load_b64 v[3:4], v[5:6], off
	s_wait_loadcnt 0x0
	v_mul_f32_e32 v0, v3, v16
	v_mul_f32_e32 v9, v4, v16
	s_delay_alu instid0(VALU_DEP_2) | instskip(NEXT) | instid1(VALU_DEP_2)
	v_fma_f32 v10, v4, v15, -v0
	v_fmac_f32_e32 v9, v3, v15
	ds_store_2addr_stride64_b64 v149, v[7:8], v[9:10] offset0:44 offset1:46
	global_load_b64 v[7:8], v149, s[8:9] offset:27648
	global_load_b64 v[0:1], v[1:2], off
	v_add_co_u32 v2, vcc_lo, v5, s2
	s_wait_alu 0xfffd
	v_add_co_ci_u32_e32 v3, vcc_lo, s3, v6, vcc_lo
	s_load_b128 s[4:7], s[6:7], 0x0
	s_wait_loadcnt 0x1
	scratch_store_b64 off, v[7:8], off offset:8 ; 8-byte Folded Spill
	s_wait_loadcnt 0x0
	v_mul_f32_e32 v4, v0, v8
	s_delay_alu instid0(VALU_DEP_1)
	v_fma_f32 v5, v1, v7, -v4
	v_mul_f32_e32 v4, v1, v8
	global_load_b64 v[8:9], v149, s[8:9] offset:29696
	v_fmac_f32_e32 v4, v0, v7
	global_load_b64 v[0:1], v[2:3], off
	v_add_co_u32 v2, vcc_lo, v2, s2
	s_wait_alu 0xfffd
	v_add_co_ci_u32_e32 v3, vcc_lo, s3, v3, vcc_lo
	v_cmp_gt_u32_e32 vcc_lo, 0x78, v200
	s_wait_loadcnt 0x1
	scratch_store_b64 off, v[8:9], off offset:32 ; 8-byte Folded Spill
	s_wait_loadcnt 0x0
	v_mul_f32_e32 v6, v0, v32
	s_delay_alu instid0(VALU_DEP_1) | instskip(SKIP_1) | instid1(VALU_DEP_1)
	v_fma_f32 v7, v1, v31, -v6
	v_mul_f32_e32 v6, v1, v32
	v_fmac_f32_e32 v6, v0, v31
	global_load_b64 v[0:1], v[11:12], off
	ds_store_2addr_stride64_b64 v149, v[6:7], v[4:5] offset0:52 offset1:54
	global_load_b64 v[6:7], v149, s[8:9] offset:28672
	scratch_store_b64 off, v[31:32], off offset:16 ; 8-byte Folded Spill
	s_wait_loadcnt 0x0
	scratch_store_b64 off, v[6:7], off offset:24 ; 8-byte Folded Spill
	v_mul_f32_e32 v4, v0, v7
	s_delay_alu instid0(VALU_DEP_1) | instskip(SKIP_1) | instid1(VALU_DEP_1)
	v_fma_f32 v5, v1, v6, -v4
	v_mul_f32_e32 v4, v1, v7
	v_fmac_f32_e32 v4, v0, v6
	global_load_b64 v[0:1], v[2:3], off
	s_wait_loadcnt 0x0
	v_mul_f32_e32 v2, v0, v9
	s_delay_alu instid0(VALU_DEP_1) | instskip(SKIP_1) | instid1(VALU_DEP_1)
	v_fma_f32 v2, v1, v8, -v2
	v_mul_f32_e32 v1, v1, v9
	v_fmac_f32_e32 v1, v0, v8
	ds_store_2addr_stride64_b64 v149, v[4:5], v[1:2] offset0:56 offset1:58
	global_wb scope:SCOPE_SE
	s_wait_storecnt_dscnt 0x0
	s_wait_kmcnt 0x0
	s_barrier_signal -1
	s_barrier_wait -1
	global_inv scope:SCOPE_SE
	ds_load_2addr_stride64_b64 v[1:4], v149 offset1:2
	ds_load_2addr_stride64_b64 v[5:8], v149 offset0:12 offset1:14
	ds_load_2addr_stride64_b64 v[9:12], v149 offset0:24 offset1:26
	;; [unrolled: 1-line block ×3, first 2 shown]
	s_wait_dscnt 0x2
	v_dual_add_f32 v13, v2, v6 :: v_dual_add_f32 v0, v1, v5
	s_wait_dscnt 0x0
	v_add_f32_e32 v59, v9, v39
	v_sub_f32_e32 v31, v10, v40
	v_sub_f32_e32 v89, v5, v9
	v_dual_add_f32 v18, v13, v10 :: v_dual_add_f32 v13, v3, v7
	v_add_f32_e32 v0, v0, v9
	v_dual_sub_f32 v63, v9, v5 :: v_dual_add_f32 v60, v10, v40
	v_sub_f32_e32 v32, v9, v39
	s_delay_alu instid0(VALU_DEP_4)
	v_dual_add_f32 v20, v13, v11 :: v_dual_add_f32 v13, v4, v8
	v_sub_f32_e32 v91, v6, v10
	v_dual_sub_f32 v64, v10, v6 :: v_dual_add_f32 v17, v11, v41
	v_sub_f32_e32 v27, v7, v11
	v_dual_sub_f32 v21, v11, v7 :: v_dual_add_f32 v22, v12, v42
	v_sub_f32_e32 v14, v11, v41
	v_sub_f32_e32 v28, v8, v12
	;; [unrolled: 1-line block ×3, first 2 shown]
	v_dual_add_f32 v0, v0, v39 :: v_dual_add_f32 v25, v13, v12
	v_sub_f32_e32 v13, v12, v42
	ds_load_2addr_stride64_b64 v[9:12], v149 offset0:48 offset1:50
	s_wait_dscnt 0x0
	v_sub_f32_e32 v35, v6, v10
	v_add_f32_e32 v67, v5, v9
	v_dual_sub_f32 v36, v5, v9 :: v_dual_add_f32 v65, v6, v10
	v_add_f32_e32 v19, v7, v11
	v_dual_sub_f32 v16, v7, v11 :: v_dual_add_f32 v5, v18, v40
	v_add_f32_e32 v6, v20, v41
	v_dual_add_f32 v66, v0, v9 :: v_dual_add_f32 v7, v25, v42
	v_sub_f32_e32 v15, v8, v12
	v_dual_add_f32 v24, v8, v12 :: v_dual_sub_f32 v101, v9, v39
	v_sub_f32_e32 v76, v39, v9
	v_dual_sub_f32 v102, v10, v40 :: v_dual_sub_f32 v77, v40, v10
	v_sub_f32_e32 v40, v11, v41
	v_dual_sub_f32 v34, v41, v11 :: v_dual_sub_f32 v41, v12, v42
	v_sub_f32_e32 v33, v42, v12
	v_add_f32_e32 v69, v5, v10
	v_dual_add_f32 v25, v6, v11 :: v_dual_add_f32 v26, v7, v12
	ds_load_2addr_stride64_b64 v[5:8], v149 offset0:4 offset1:6
	ds_load_2addr_stride64_b64 v[9:12], v149 offset0:16 offset1:18
	;; [unrolled: 1-line block ×4, first 2 shown]
	s_wait_dscnt 0x1
	v_dual_add_f32 v0, v7, v11 :: v_dual_sub_f32 v51, v12, v73
	s_wait_dscnt 0x0
	v_sub_f32_e32 v115, v11, v44
	v_add_f32_e32 v84, v11, v72
	v_sub_f32_e32 v90, v44, v11
	v_add_f32_e32 v29, v8, v12
	v_dual_sub_f32 v53, v11, v72 :: v_dual_sub_f32 v116, v12, v45
	v_dual_add_f32 v83, v12, v73 :: v_dual_sub_f32 v92, v45, v12
	v_dual_add_f32 v11, v5, v9 :: v_dual_add_f32 v12, v6, v10
	v_sub_f32_e32 v18, v10, v71
	v_sub_f32_e32 v38, v9, v42
	v_add_f32_e32 v37, v9, v70
	v_dual_sub_f32 v39, v42, v9 :: v_dual_sub_f32 v20, v9, v70
	v_add_f32_e32 v46, v10, v71
	v_dual_sub_f32 v48, v10, v43 :: v_dual_sub_f32 v47, v43, v10
	v_add_f32_e32 v52, v11, v42
	v_add_f32_e32 v54, v12, v43
	ds_load_2addr_stride64_b64 v[9:12], v149 offset0:40 offset1:42
	v_add_f32_e32 v0, v0, v44
	v_add_f32_e32 v50, v29, v45
	v_fma_f32 v67, -0.5, v67, v1
	v_fma_f32 v1, -0.5, v59, v1
	s_wait_dscnt 0x0
	v_dual_add_f32 v117, v44, v11 :: v_dual_sub_f32 v98, v45, v12
	v_dual_add_f32 v118, v45, v12 :: v_dual_sub_f32 v97, v44, v11
	v_add_f32_e32 v45, v42, v9
	v_sub_f32_e32 v29, v43, v10
	v_dual_add_f32 v49, v43, v10 :: v_dual_sub_f32 v30, v42, v9
	v_add_f32_e32 v0, v0, v11
	v_dual_add_f32 v42, v50, v12 :: v_dual_add_f32 v43, v52, v9
	v_dual_add_f32 v44, v54, v10 :: v_dual_sub_f32 v119, v72, v11
	v_sub_f32_e32 v120, v11, v72
	v_dual_sub_f32 v121, v73, v12 :: v_dual_sub_f32 v122, v12, v73
	v_dual_sub_f32 v55, v70, v9 :: v_dual_sub_f32 v52, v9, v70
	v_sub_f32_e32 v56, v71, v10
	v_sub_f32_e32 v50, v10, v71
	ds_load_2addr_stride64_b64 v[9:12], v149 offset0:8 offset1:10
	ds_load_2addr_stride64_b64 v[78:81], v149 offset0:20 offset1:22
	;; [unrolled: 1-line block ×5, first 2 shown]
	v_dual_add_f32 v0, v0, v72 :: v_dual_add_f32 v123, v42, v73
	v_dual_add_f32 v44, v44, v71 :: v_dual_add_f32 v63, v63, v76
	v_add_f32_e32 v76, v90, v120
	v_add_f32_e32 v64, v64, v77
	global_wb scope:SCOPE_SE
	s_wait_dscnt 0x0
	s_barrier_signal -1
	s_barrier_wait -1
	global_inv scope:SCOPE_SE
	v_fma_f32 v19, -0.5, v19, v3
	v_fma_f32 v3, -0.5, v17, v3
	v_add_f32_e32 v58, v10, v79
	v_dual_sub_f32 v68, v109, v80 :: v_dual_add_f32 v43, v43, v70
	v_dual_add_f32 v74, v12, v81 :: v_dual_add_f32 v57, v9, v78
	v_dual_sub_f32 v54, v80, v105 :: v_dual_sub_f32 v93, v107, v78
	s_delay_alu instid0(VALU_DEP_4) | instskip(NEXT) | instid1(VALU_DEP_3)
	v_add_f32_e32 v82, v58, v108
	v_dual_add_f32 v87, v79, v104 :: v_dual_add_f32 v74, v74, v110
	v_add_f32_e32 v70, v11, v80
	v_sub_f32_e32 v71, v79, v104
	v_sub_f32_e32 v99, v78, v107
	v_add_f32_e32 v88, v78, v103
	v_sub_f32_e32 v72, v78, v103
	v_sub_f32_e32 v100, v79, v108
	;; [unrolled: 1-line block ×3, first 2 shown]
	v_add_f32_e32 v62, v80, v105
	v_dual_sub_f32 v42, v81, v106 :: v_dual_sub_f32 v61, v80, v109
	v_sub_f32_e32 v58, v110, v114
	v_dual_sub_f32 v73, v81, v110 :: v_dual_sub_f32 v78, v110, v81
	v_dual_add_f32 v70, v70, v109 :: v_dual_add_f32 v75, v81, v106
	v_dual_add_f32 v81, v57, v107 :: v_dual_add_f32 v80, v110, v114
	v_dual_sub_f32 v95, v107, v111 :: v_dual_add_f32 v74, v74, v114
	v_add_f32_e32 v79, v109, v113
	v_sub_f32_e32 v57, v109, v113
	v_dual_add_f32 v109, v82, v112 :: v_dual_sub_f32 v86, v113, v105
	v_sub_f32_e32 v85, v114, v106
	v_sub_f32_e32 v82, v106, v114
	v_add_f32_e32 v114, v116, v121
	v_fma_f32 v116, -0.5, v65, v2
	v_fma_f32 v2, -0.5, v60, v2
	v_add_f32_e32 v124, v107, v111
	v_dual_add_f32 v70, v70, v113 :: v_dual_add_f32 v107, v81, v111
	v_sub_f32_e32 v81, v105, v113
	v_add_f32_e32 v113, v115, v119
	v_dual_fmamk_f32 v115, v31, 0xbf737871, v67 :: v_dual_fmamk_f32 v60, v36, 0xbf737871, v2
	v_sub_f32_e32 v110, v103, v111
	v_dual_sub_f32 v111, v111, v103 :: v_dual_add_f32 v74, v74, v106
	v_dual_sub_f32 v125, v104, v112 :: v_dual_add_f32 v106, v91, v102
	s_delay_alu instid0(VALU_DEP_4) | instskip(SKIP_3) | instid1(VALU_DEP_3)
	v_fmac_f32_e32 v115, 0x3f167918, v35
	v_fmac_f32_e32 v60, 0xbf167918, v32
	v_add_f32_e32 v70, v70, v105
	v_dual_add_f32 v105, v89, v101 :: v_dual_sub_f32 v96, v108, v112
	v_dual_fmac_f32 v115, 0x3e9e377a, v63 :: v_dual_fmac_f32 v60, 0x3e9e377a, v106
	v_fmac_f32_e32 v67, 0x3f737871, v31
	v_add_f32_e32 v107, v107, v103
	v_add_f32_e32 v90, v69, v123
	v_fmac_f32_e32 v2, 0x3f737871, v36
	s_delay_alu instid0(VALU_DEP_4) | instskip(SKIP_2) | instid1(VALU_DEP_4)
	v_dual_add_f32 v108, v108, v112 :: v_dual_fmac_f32 v67, 0xbf167918, v35
	v_add_f32_e32 v89, v66, v0
	v_sub_f32_e32 v112, v112, v104
	v_fmac_f32_e32 v2, 0x3f167918, v32
	s_delay_alu instid0(VALU_DEP_4) | instskip(SKIP_2) | instid1(VALU_DEP_4)
	v_fmac_f32_e32 v67, 0x3e9e377a, v63
	v_fmamk_f32 v63, v32, 0x3f737871, v116
	v_fmac_f32_e32 v116, 0xbf737871, v32
	v_fmac_f32_e32 v2, 0x3e9e377a, v106
	v_fma_f32 v32, -0.5, v108, v10
	v_fmamk_f32 v17, v15, 0x3f737871, v3
	v_fmac_f32_e32 v63, 0xbf167918, v36
	v_dual_fmac_f32 v116, 0x3f167918, v36 :: v_dual_add_f32 v77, v92, v122
	v_fmac_f32_e32 v3, 0xbf737871, v15
	s_delay_alu instid0(VALU_DEP_3) | instskip(NEXT) | instid1(VALU_DEP_3)
	v_fmac_f32_e32 v63, 0x3e9e377a, v64
	v_fmac_f32_e32 v116, 0x3e9e377a, v64
	v_fma_f32 v64, -0.5, v84, v7
	v_add_f32_e32 v109, v109, v104
	v_fma_f32 v7, -0.5, v117, v7
	v_fmac_f32_e32 v3, 0xbf167918, v13
	s_delay_alu instid0(VALU_DEP_4) | instskip(SKIP_1) | instid1(VALU_DEP_2)
	v_fmamk_f32 v65, v98, 0xbf737871, v64
	v_fmac_f32_e32 v64, 0x3f737871, v98
	v_fmac_f32_e32 v65, 0x3f167918, v51
	s_delay_alu instid0(VALU_DEP_2) | instskip(NEXT) | instid1(VALU_DEP_2)
	v_fmac_f32_e32 v64, 0xbf167918, v51
	v_fmac_f32_e32 v65, 0x3e9e377a, v76
	s_delay_alu instid0(VALU_DEP_2) | instskip(SKIP_4) | instid1(VALU_DEP_4)
	v_fmac_f32_e32 v64, 0x3e9e377a, v76
	v_fma_f32 v76, -0.5, v83, v8
	v_fma_f32 v8, -0.5, v118, v8
	v_fmamk_f32 v59, v35, 0x3f737871, v1
	v_dual_mul_f32 v118, 0xbf737871, v65 :: v_dual_fmac_f32 v1, 0xbf737871, v35
	v_fmamk_f32 v83, v97, 0x3f737871, v76
	v_fmac_f32_e32 v76, 0xbf737871, v97
	v_fmamk_f32 v84, v53, 0xbf737871, v8
	v_fmac_f32_e32 v8, 0x3f737871, v53
	v_fmac_f32_e32 v1, 0xbf167918, v31
	;; [unrolled: 1-line block ×7, first 2 shown]
	s_delay_alu instid0(VALU_DEP_4) | instskip(NEXT) | instid1(VALU_DEP_4)
	v_fmac_f32_e32 v76, 0x3e9e377a, v77
	v_dual_fmac_f32 v84, 0x3e9e377a, v114 :: v_dual_fmac_f32 v83, 0x3e9e377a, v77
	v_fmamk_f32 v77, v51, 0x3f737871, v7
	v_fmac_f32_e32 v7, 0xbf737871, v51
	v_fmac_f32_e32 v8, 0x3e9e377a, v114
	v_or_b32_e32 v51, 0x80, v200
	v_fmac_f32_e32 v118, 0x3e9e377a, v83
	v_fmac_f32_e32 v77, 0x3f167918, v98
	;; [unrolled: 1-line block ×3, first 2 shown]
	s_delay_alu instid0(VALU_DEP_2) | instskip(NEXT) | instid1(VALU_DEP_2)
	v_dual_add_f32 v102, v63, v118 :: v_dual_fmac_f32 v77, 0x3e9e377a, v113
	v_fmac_f32_e32 v7, 0x3e9e377a, v113
	s_delay_alu instid0(VALU_DEP_2) | instskip(SKIP_1) | instid1(VALU_DEP_2)
	v_mul_f32_e32 v117, 0x3f4f1bbd, v77
	v_mul_f32_e32 v77, 0xbf167918, v77
	v_fmac_f32_e32 v117, 0x3f167918, v84
	s_delay_alu instid0(VALU_DEP_2) | instskip(SKIP_1) | instid1(VALU_DEP_2)
	v_fmac_f32_e32 v77, 0x3f4f1bbd, v84
	v_mul_f32_e32 v84, 0x3f737871, v83
	v_dual_mul_f32 v83, 0xbe9e377a, v64 :: v_dual_add_f32 v92, v60, v77
	s_delay_alu instid0(VALU_DEP_2) | instskip(SKIP_2) | instid1(VALU_DEP_4)
	v_dual_fmac_f32 v84, 0x3e9e377a, v65 :: v_dual_sub_f32 v65, v66, v0
	v_mul_f32_e32 v0, 0xbf4f1bbd, v7
	v_fmac_f32_e32 v59, 0x3f167918, v31
	v_fmac_f32_e32 v83, 0x3f737871, v76
	s_delay_alu instid0(VALU_DEP_4) | instskip(NEXT) | instid1(VALU_DEP_4)
	v_dual_add_f32 v101, v115, v84 :: v_dual_sub_f32 v66, v69, v123
	v_fmac_f32_e32 v0, 0x3f167918, v8
	s_delay_alu instid0(VALU_DEP_4) | instskip(SKIP_3) | instid1(VALU_DEP_3)
	v_fmac_f32_e32 v59, 0x3e9e377a, v105
	v_mul_f32_e32 v76, 0xbe9e377a, v76
	v_dual_mul_f32 v8, 0xbf4f1bbd, v8 :: v_dual_add_f32 v103, v67, v83
	v_fma_f32 v31, -0.5, v124, v9
	v_dual_add_f32 v91, v59, v117 :: v_dual_fmac_f32 v76, 0xbf737871, v64
	v_mul_u32_u24_e32 v64, 10, v200
	s_delay_alu instid0(VALU_DEP_4) | instskip(NEXT) | instid1(VALU_DEP_3)
	v_dual_fmac_f32 v8, 0xbf167918, v7 :: v_dual_add_f32 v7, v21, v34
	v_dual_fmamk_f32 v21, v71, 0x3f737871, v31 :: v_dual_add_f32 v104, v116, v76
	s_delay_alu instid0(VALU_DEP_3)
	v_lshlrev_b32_e32 v119, 3, v64
	ds_store_b128 v119, v[89:92]
	ds_store_b128 v119, v[101:104] offset:16
	v_dual_sub_f32 v92, v63, v118 :: v_dual_add_f32 v63, v1, v0
	v_dual_add_f32 v64, v2, v8 :: v_dual_sub_f32 v89, v59, v117
	v_dual_sub_f32 v91, v115, v84 :: v_dual_sub_f32 v90, v60, v77
	scratch_store_b32 off, v119, off offset:256 ; 4-byte Folded Spill
	ds_store_b128 v119, v[63:66] offset:32
	ds_store_b128 v119, v[89:92] offset:48
	v_sub_f32_e32 v65, v1, v0
	v_add_f32_e32 v1, v28, v41
	v_fma_f32 v28, -0.5, v22, v4
	v_fmac_f32_e32 v4, -0.5, v24
	v_sub_f32_e32 v66, v2, v8
	v_dual_add_f32 v2, v99, v110 :: v_dual_fmac_f32 v21, 0x3f167918, v96
	v_add_f32_e32 v8, v23, v33
	s_delay_alu instid0(VALU_DEP_4) | instskip(SKIP_3) | instid1(VALU_DEP_4)
	v_fmamk_f32 v36, v14, 0x3f737871, v4
	v_fmamk_f32 v22, v72, 0xbf737871, v32
	v_dual_add_f32 v0, v27, v40 :: v_dual_fmamk_f32 v35, v13, 0xbf737871, v19
	v_fmamk_f32 v60, v16, 0xbf737871, v28
	v_fmac_f32_e32 v36, 0xbf167918, v16
	v_fmac_f32_e32 v21, 0x3e9e377a, v2
	;; [unrolled: 1-line block ×6, first 2 shown]
	v_mul_f32_e32 v34, 0xbf167918, v21
	v_dual_add_f32 v27, v100, v125 :: v_dual_fmac_f32 v60, 0xbf167918, v14
	v_fmac_f32_e32 v4, 0xbf737871, v14
	v_fmac_f32_e32 v17, 0x3e9e377a, v0
	;; [unrolled: 1-line block ×3, first 2 shown]
	s_delay_alu instid0(VALU_DEP_4)
	v_fmac_f32_e32 v22, 0x3e9e377a, v27
	v_fmac_f32_e32 v60, 0x3e9e377a, v1
	;; [unrolled: 1-line block ×5, first 2 shown]
	v_dual_fmac_f32 v34, 0x3f4f1bbd, v22 :: v_dual_mul_f32 v33, 0x3f4f1bbd, v21
	s_delay_alu instid0(VALU_DEP_4) | instskip(SKIP_2) | instid1(VALU_DEP_4)
	v_dual_add_f32 v21, v93, v111 :: v_dual_fmac_f32 v4, 0x3e9e377a, v8
	v_fmac_f32_e32 v19, 0x3f737871, v13
	v_fmac_f32_e32 v31, 0xbf167918, v96
	v_dual_fmac_f32 v33, 0x3f167918, v22 :: v_dual_add_f32 v22, v94, v112
	v_fmac_f32_e32 v35, 0x3e9e377a, v7
	s_delay_alu instid0(VALU_DEP_4) | instskip(SKIP_3) | instid1(VALU_DEP_4)
	v_fmac_f32_e32 v19, 0xbf167918, v15
	v_fmac_f32_e32 v32, 0x3f167918, v95
	;; [unrolled: 1-line block ×3, first 2 shown]
	v_dual_fmac_f32 v28, 0x3f737871, v16 :: v_dual_sub_f32 v63, v67, v83
	v_fmac_f32_e32 v19, 0x3e9e377a, v7
	v_fma_f32 v7, -0.5, v88, v9
	v_fma_f32 v9, -0.5, v87, v10
	v_fmac_f32_e32 v32, 0x3e9e377a, v27
	v_sub_f32_e32 v64, v116, v76
	v_fmac_f32_e32 v28, 0x3f167918, v14
	v_fmamk_f32 v8, v96, 0xbf737871, v7
	v_fmac_f32_e32 v7, 0x3f737871, v96
	v_fmamk_f32 v10, v95, 0x3f737871, v9
	v_fmac_f32_e32 v9, 0xbf737871, v95
	v_mul_f32_e32 v13, 0xbf4f1bbd, v32
	ds_store_b128 v119, v[63:66] offset:64
	v_dual_fmac_f32 v7, 0xbf167918, v71 :: v_dual_fmac_f32 v10, 0xbf167918, v72
	v_fmac_f32_e32 v9, 0x3f167918, v72
	v_fmac_f32_e32 v13, 0xbf167918, v31
	;; [unrolled: 1-line block ×3, first 2 shown]
	s_delay_alu instid0(VALU_DEP_4) | instskip(SKIP_2) | instid1(VALU_DEP_3)
	v_dual_fmac_f32 v7, 0x3e9e377a, v21 :: v_dual_fmac_f32 v10, 0x3e9e377a, v22
	v_mul_f32_e32 v0, 0xbf4f1bbd, v31
	v_dual_add_f32 v15, v38, v55 :: v_dual_add_f32 v16, v48, v56
	v_mul_f32_e32 v53, 0xbe9e377a, v7
	s_delay_alu instid0(VALU_DEP_4) | instskip(SKIP_2) | instid1(VALU_DEP_2)
	v_mul_f32_e32 v40, 0x3f737871, v10
	v_fmac_f32_e32 v9, 0x3e9e377a, v22
	v_fmac_f32_e32 v0, 0x3f167918, v32
	v_mul_f32_e32 v59, 0xbe9e377a, v9
	s_delay_alu instid0(VALU_DEP_1) | instskip(SKIP_2) | instid1(VALU_DEP_3)
	v_fmac_f32_e32 v59, 0xbf737871, v7
	v_add_f32_e32 v7, v25, v107
	v_fmac_f32_e32 v8, 0x3f167918, v71
	v_add_f32_e32 v24, v4, v59
	v_sub_f32_e32 v2, v4, v59
	v_sub_f32_e32 v4, v28, v13
	s_delay_alu instid0(VALU_DEP_4) | instskip(SKIP_1) | instid1(VALU_DEP_2)
	v_fmac_f32_e32 v8, 0x3e9e377a, v21
	v_mul_u32_u24_e32 v21, 10, v51
	v_fmac_f32_e32 v40, 0x3e9e377a, v8
	v_fmac_f32_e32 v53, 0x3f737871, v9
	v_mul_f32_e32 v41, 0xbf737871, v8
	s_delay_alu instid0(VALU_DEP_4) | instskip(SKIP_2) | instid1(VALU_DEP_4)
	v_lshlrev_b32_e32 v63, 3, v21
	v_add_f32_e32 v9, v17, v33
	v_dual_add_f32 v21, v35, v40 :: v_dual_add_f32 v8, v26, v109
	v_fmac_f32_e32 v41, 0x3e9e377a, v10
	v_dual_add_f32 v10, v60, v34 :: v_dual_add_f32 v23, v19, v53
	s_delay_alu instid0(VALU_DEP_2)
	v_add_f32_e32 v22, v36, v41
	ds_store_b128 v63, v[7:10]
	ds_store_b128 v63, v[21:24] offset:16
	v_dual_sub_f32 v9, v25, v107 :: v_dual_sub_f32 v10, v26, v109
	v_sub_f32_e32 v21, v17, v33
	v_dual_add_f32 v7, v3, v0 :: v_dual_add_f32 v8, v28, v13
	v_sub_f32_e32 v3, v3, v0
	v_fma_f32 v13, -0.5, v80, v12
	v_dual_fmac_f32 v12, -0.5, v75 :: v_dual_sub_f32 v1, v19, v53
	v_dual_sub_f32 v23, v35, v40 :: v_dual_sub_f32 v22, v60, v34
	v_sub_f32_e32 v24, v36, v41
	ds_store_b128 v63, v[7:10] offset:32
	ds_store_b128 v63, v[21:24] offset:48
	;; [unrolled: 1-line block ×3, first 2 shown]
	v_fma_f32 v2, -0.5, v62, v11
	v_add_f32_e32 v0, v68, v86
	v_fmamk_f32 v4, v57, 0x3f737871, v12
	v_fmac_f32_e32 v12, 0xbf737871, v57
	v_fma_f32 v23, -0.5, v49, v6
	v_fmamk_f32 v3, v58, 0xbf737871, v2
	v_fmac_f32_e32 v2, 0x3f737871, v58
	v_fmac_f32_e32 v6, -0.5, v46
	v_fmac_f32_e32 v12, 0x3f167918, v54
	v_fma_f32 v11, -0.5, v79, v11
	v_add_f32_e32 v19, v73, v82
	v_dual_fmac_f32 v2, 0xbf167918, v42 :: v_dual_add_f32 v1, v78, v85
	v_fmamk_f32 v26, v30, 0x3f737871, v6
	v_fmac_f32_e32 v4, 0xbf167918, v54
	v_fmamk_f32 v31, v20, 0xbf737871, v23
	s_delay_alu instid0(VALU_DEP_4)
	v_fmac_f32_e32 v2, 0x3e9e377a, v0
	v_fmac_f32_e32 v12, 0x3e9e377a, v1
	v_fma_f32 v24, -0.5, v37, v5
	v_fmamk_f32 v7, v42, 0x3f737871, v11
	v_fmac_f32_e32 v31, 0xbf167918, v30
	v_dual_mul_f32 v14, 0xbe9e377a, v2 :: v_dual_add_f32 v17, v61, v81
	v_fmamk_f32 v8, v54, 0xbf737871, v13
	v_fma_f32 v5, -0.5, v45, v5
	s_delay_alu instid0(VALU_DEP_4) | instskip(NEXT) | instid1(VALU_DEP_4)
	v_fmac_f32_e32 v31, 0x3e9e377a, v16
	v_fmac_f32_e32 v14, 0x3f737871, v12
	v_mul_f32_e32 v12, 0xbe9e377a, v12
	v_fmamk_f32 v25, v29, 0xbf737871, v24
	v_fmac_f32_e32 v24, 0x3f737871, v29
	v_fmac_f32_e32 v11, 0xbf737871, v42
	scratch_store_b32 off, v63, off offset:252 ; 4-byte Folded Spill
	v_fmac_f32_e32 v12, 0xbf737871, v2
	v_add_f32_e32 v2, v44, v74
	v_fmac_f32_e32 v3, 0x3f167918, v42
	v_dual_fmac_f32 v4, 0x3e9e377a, v1 :: v_dual_add_f32 v1, v43, v70
	v_dual_fmac_f32 v26, 0xbf167918, v20 :: v_dual_fmac_f32 v11, 0xbf167918, v58
	s_delay_alu instid0(VALU_DEP_3) | instskip(SKIP_1) | instid1(VALU_DEP_4)
	v_fmac_f32_e32 v3, 0x3e9e377a, v0
	v_fmac_f32_e32 v6, 0xbf737871, v30
	v_mul_f32_e32 v0, 0x3f737871, v4
	v_fmac_f32_e32 v23, 0x3f737871, v20
	v_fmac_f32_e32 v11, 0x3e9e377a, v17
	v_mul_f32_e32 v27, 0xbf737871, v3
	v_dual_fmac_f32 v7, 0x3f167918, v58 :: v_dual_fmac_f32 v6, 0x3f167918, v20
	v_fmac_f32_e32 v0, 0x3e9e377a, v3
	v_or_b32_e32 v49, 0x180, v200
	s_delay_alu instid0(VALU_DEP_4) | instskip(NEXT) | instid1(VALU_DEP_4)
	v_fmac_f32_e32 v27, 0x3e9e377a, v4
	v_fmac_f32_e32 v7, 0x3e9e377a, v17
	v_or_b32_e32 v53, 0x200, v200
	s_delay_alu instid0(VALU_DEP_2) | instskip(SKIP_2) | instid1(VALU_DEP_1)
	v_mul_f32_e32 v22, 0xbf167918, v7
	v_mul_f32_e32 v21, 0x3f4f1bbd, v7
	v_dual_add_f32 v7, v39, v52 :: v_dual_fmac_f32 v8, 0xbf167918, v57
	v_fmac_f32_e32 v8, 0x3e9e377a, v19
	s_delay_alu instid0(VALU_DEP_1) | instskip(NEXT) | instid1(VALU_DEP_1)
	v_fmac_f32_e32 v22, 0x3f4f1bbd, v8
	v_add_f32_e32 v4, v31, v22
	v_fmac_f32_e32 v25, 0x3f167918, v18
	s_delay_alu instid0(VALU_DEP_1) | instskip(SKIP_3) | instid1(VALU_DEP_3)
	v_fmac_f32_e32 v25, 0x3e9e377a, v7
	v_fmamk_f32 v28, v18, 0x3f737871, v5
	v_fmac_f32_e32 v21, 0x3f167918, v8
	v_fmac_f32_e32 v5, 0xbf737871, v18
	;; [unrolled: 1-line block ×3, first 2 shown]
	s_delay_alu instid0(VALU_DEP_2) | instskip(NEXT) | instid1(VALU_DEP_2)
	v_fmac_f32_e32 v5, 0xbf167918, v29
	v_fmac_f32_e32 v28, 0x3e9e377a, v15
	;; [unrolled: 1-line block ×3, first 2 shown]
	s_delay_alu instid0(VALU_DEP_3) | instskip(NEXT) | instid1(VALU_DEP_2)
	v_fmac_f32_e32 v5, 0x3e9e377a, v15
	v_dual_add_f32 v3, v28, v21 :: v_dual_fmac_f32 v24, 0x3e9e377a, v7
	v_add_f32_e32 v7, v47, v50
	v_or_b32_e32 v50, 0x100, v200
	s_delay_alu instid0(VALU_DEP_2) | instskip(NEXT) | instid1(VALU_DEP_1)
	v_dual_add_f32 v9, v24, v14 :: v_dual_fmac_f32 v6, 0x3e9e377a, v7
	v_dual_fmac_f32 v13, 0x3f737871, v54 :: v_dual_add_f32 v10, v6, v12
	v_fmac_f32_e32 v26, 0x3e9e377a, v7
	s_delay_alu instid0(VALU_DEP_4) | instskip(NEXT) | instid1(VALU_DEP_1)
	v_mul_u32_u24_e32 v7, 10, v50
	v_dual_fmac_f32 v13, 0x3f167918, v57 :: v_dual_lshlrev_b32 v32, 3, v7
	s_delay_alu instid0(VALU_DEP_3)
	v_dual_add_f32 v7, v25, v0 :: v_dual_add_f32 v8, v26, v27
	ds_store_b128 v32, v[1:4]
	ds_store_b128 v32, v[7:10] offset:16
	v_dual_sub_f32 v4, v44, v74 :: v_dual_sub_f32 v9, v25, v0
	v_sub_f32_e32 v8, v31, v22
	v_sub_f32_e32 v10, v26, v27
	v_fmac_f32_e32 v13, 0x3e9e377a, v19
	v_mul_f32_e32 v0, 0xbf4f1bbd, v11
	v_fmac_f32_e32 v23, 0x3f167918, v30
	v_sub_f32_e32 v3, v43, v70
	v_sub_f32_e32 v7, v28, v21
	s_delay_alu instid0(VALU_DEP_4) | instskip(SKIP_2) | instid1(VALU_DEP_3)
	v_fmac_f32_e32 v0, 0x3f167918, v13
	v_mul_f32_e32 v13, 0xbf4f1bbd, v13
	v_fmac_f32_e32 v23, 0x3e9e377a, v16
	v_add_f32_e32 v1, v5, v0
	s_delay_alu instid0(VALU_DEP_3) | instskip(NEXT) | instid1(VALU_DEP_1)
	v_fmac_f32_e32 v13, 0xbf167918, v11
	v_add_f32_e32 v2, v23, v13
	ds_store_b128 v32, v[1:4] offset:32
	ds_store_b128 v32, v[7:10] offset:48
	v_sub_f32_e32 v3, v5, v0
	v_mul_lo_u16 v0, 0x67, v200
	v_dual_sub_f32 v2, v6, v12 :: v_dual_sub_f32 v1, v24, v14
	v_sub_f32_e32 v4, v23, v13
	scratch_store_b32 off, v32, off offset:248 ; 4-byte Folded Spill
	v_lshrrev_b16 v56, 10, v0
	v_mul_lo_u16 v0, 0xcd, v51
	ds_store_b128 v32, v[1:4] offset:64
	global_wb scope:SCOPE_SE
	s_wait_storecnt_dscnt 0x0
	s_barrier_signal -1
	v_lshrrev_b16 v52, 11, v0
	v_mul_lo_u16 v0, v56, 10
	s_barrier_wait -1
	global_inv scope:SCOPE_SE
	v_mul_lo_u16 v1, v52, 10
	v_sub_nc_u16 v0, v200, v0
	s_delay_alu instid0(VALU_DEP_2) | instskip(NEXT) | instid1(VALU_DEP_2)
	v_sub_nc_u16 v1, v51, v1
	v_and_b32_e32 v55, 0xff, v0
	s_delay_alu instid0(VALU_DEP_2) | instskip(NEXT) | instid1(VALU_DEP_2)
	v_and_b32_e32 v54, 0xff, v1
	v_mad_co_u64_u32 v[0:1], null, v55, 40, s[10:11]
	s_clause 0x2
	global_load_b64 v[9:10], v[0:1], off offset:32
	global_load_b128 v[127:130], v[0:1], off
	global_load_b128 v[119:122], v[0:1], off offset:16
	ds_load_2addr_stride64_b64 v[13:16], v149 offset0:20 offset1:22
	s_wait_loadcnt_dscnt 0x100
	v_mul_f32_e32 v0, v14, v130
	s_delay_alu instid0(VALU_DEP_1) | instskip(SKIP_4) | instid1(VALU_DEP_1)
	v_fma_f32 v2, v13, v129, -v0
	v_mad_co_u64_u32 v[0:1], null, v54, 40, s[10:11]
	global_load_b128 v[123:126], v[0:1], off
	v_mul_f32_e32 v3, v13, v130
	s_wait_loadcnt 0x0
	v_dual_fmac_f32 v3, v14, v129 :: v_dual_mul_f32 v4, v16, v126
	v_mul_f32_e32 v92, v15, v126
	s_delay_alu instid0(VALU_DEP_2) | instskip(NEXT) | instid1(VALU_DEP_2)
	v_fma_f32 v93, v15, v125, -v4
	v_fmac_f32_e32 v92, v16, v125
	ds_load_2addr_stride64_b64 v[13:16], v149 offset0:40 offset1:42
	s_clause 0x1
	global_load_b64 v[7:8], v[0:1], off offset:32
	global_load_b128 v[111:114], v[0:1], off offset:16
	ds_load_2addr_stride64_b64 v[21:24], v149 offset0:12 offset1:14
	s_wait_dscnt 0x1
	v_mul_f32_e32 v4, v14, v122
	s_wait_dscnt 0x0
	v_mul_f32_e32 v84, v21, v124
	v_mul_f32_e32 v6, v22, v124
	s_delay_alu instid0(VALU_DEP_3) | instskip(NEXT) | instid1(VALU_DEP_3)
	v_fma_f32 v4, v13, v121, -v4
	v_fmac_f32_e32 v84, v22, v123
	s_delay_alu instid0(VALU_DEP_3) | instskip(SKIP_2) | instid1(VALU_DEP_1)
	v_fma_f32 v83, v21, v123, -v6
	s_wait_loadcnt 0x0
	v_mul_f32_e32 v0, v16, v114
	v_fma_f32 v98, v15, v113, -v0
	v_mul_u32_u24_e32 v0, 0x199a, v50
	s_delay_alu instid0(VALU_DEP_1) | instskip(NEXT) | instid1(VALU_DEP_1)
	v_lshrrev_b32_e32 v65, 16, v0
	v_mul_lo_u16 v0, v65, 10
	s_delay_alu instid0(VALU_DEP_1) | instskip(NEXT) | instid1(VALU_DEP_1)
	v_sub_nc_u16 v66, v50, v0
	v_mul_lo_u16 v0, v66, 40
	s_delay_alu instid0(VALU_DEP_1) | instskip(NEXT) | instid1(VALU_DEP_1)
	v_and_b32_e32 v0, 0xffff, v0
	v_add_co_u32 v0, s2, s10, v0
	s_wait_alu 0xf1ff
	v_add_co_ci_u32_e64 v1, null, s11, 0, s2
	s_clause 0x1
	global_load_b128 v[115:118], v[0:1], off
	global_load_b128 v[103:106], v[0:1], off offset:16
	v_mul_f32_e32 v5, v13, v122
	global_load_b64 v[11:12], v[0:1], off offset:32
	ds_load_2addr_stride64_b64 v[29:32], v149 offset0:52 offset1:54
	scratch_store_b64 off, v[7:8], off offset:268 ; 8-byte Folded Spill
	s_wait_dscnt 0x0
	v_mul_f32_e32 v101, v29, v8
	s_wait_loadcnt 0x2
	s_delay_alu instid0(VALU_DEP_1)
	v_dual_fmac_f32 v101, v30, v7 :: v_dual_mul_f32 v6, v24, v116
	v_dual_fmac_f32 v5, v14, v121 :: v_dual_mul_f32 v64, v23, v116
	s_wait_loadcnt 0x0
	scratch_store_b64 off, v[11:12], off offset:260 ; 8-byte Folded Spill
	v_fma_f32 v63, v23, v115, -v6
	v_sub_f32_e32 v14, v3, v5
	v_fmac_f32_e32 v64, v24, v115
	ds_load_2addr_stride64_b64 v[21:24], v149 offset0:32 offset1:34
	s_wait_dscnt 0x0
	v_dual_mul_f32 v95, v15, v114 :: v_dual_mul_f32 v6, v22, v112
	s_delay_alu instid0(VALU_DEP_1) | instskip(SKIP_1) | instid1(VALU_DEP_3)
	v_dual_fmac_f32 v95, v16, v113 :: v_dual_mul_f32 v76, v23, v104
	v_mul_f32_e32 v99, v21, v112
	v_fma_f32 v100, v21, v111, -v6
	v_mul_f32_e32 v6, v24, v104
	s_delay_alu instid0(VALU_DEP_4) | instskip(NEXT) | instid1(VALU_DEP_4)
	v_fmac_f32_e32 v76, v24, v103
	v_fmac_f32_e32 v99, v22, v111
	s_delay_alu instid0(VALU_DEP_3) | instskip(SKIP_1) | instid1(VALU_DEP_1)
	v_fma_f32 v77, v23, v103, -v6
	v_mul_u32_u24_e32 v6, 0x199a, v49
	v_lshrrev_b32_e32 v59, 16, v6
	s_delay_alu instid0(VALU_DEP_1) | instskip(NEXT) | instid1(VALU_DEP_1)
	v_mul_lo_u16 v6, v59, 10
	v_sub_nc_u16 v60, v49, v6
	s_delay_alu instid0(VALU_DEP_1) | instskip(NEXT) | instid1(VALU_DEP_1)
	v_mul_lo_u16 v0, v60, 40
	v_and_b32_e32 v0, 0xffff, v0
	s_delay_alu instid0(VALU_DEP_1) | instskip(SKIP_4) | instid1(VALU_DEP_1)
	v_add_co_u32 v0, s2, s10, v0
	s_wait_alu 0xf1ff
	v_add_co_ci_u32_e64 v1, null, s11, 0, s2
	global_load_b128 v[107:110], v[0:1], off
	v_mul_f32_e32 v85, v31, v12
	v_dual_mul_f32 v6, v30, v8 :: v_dual_fmac_f32 v85, v32, v11
	s_delay_alu instid0(VALU_DEP_1) | instskip(SKIP_1) | instid1(VALU_DEP_1)
	v_fma_f32 v102, v29, v7, -v6
	v_mul_f32_e32 v6, v32, v12
	v_fma_f32 v86, v31, v11, -v6
	ds_load_2addr_stride64_b64 v[29:32], v149 offset0:24 offset1:26
	v_mov_b32_e32 v11, v10
	v_mov_b32_e32 v10, v9
	s_wait_dscnt 0x0
	v_mul_f32_e32 v6, v30, v118
	v_mul_f32_e32 v87, v29, v118
	s_delay_alu instid0(VALU_DEP_2) | instskip(SKIP_1) | instid1(VALU_DEP_2)
	v_fma_f32 v89, v29, v117, -v6
	s_wait_loadcnt 0x0
	v_dual_fmac_f32 v87, v30, v117 :: v_dual_mul_f32 v6, v32, v110
	v_mul_f32_e32 v67, v31, v110
	s_delay_alu instid0(VALU_DEP_2) | instskip(NEXT) | instid1(VALU_DEP_2)
	v_fma_f32 v69, v31, v109, -v6
	v_fmac_f32_e32 v67, v32, v109
	ds_load_2addr_stride64_b64 v[29:32], v149 offset0:44 offset1:46
	s_clause 0x1
	global_load_b64 v[12:13], v[0:1], off offset:32
	global_load_b128 v[33:36], v[0:1], off offset:16
	ds_load_2addr_stride64_b64 v[39:42], v149 offset0:16 offset1:18
	s_wait_dscnt 0x1
	v_mul_f32_e32 v6, v30, v106
	v_mul_f32_e32 v90, v29, v106
	s_wait_dscnt 0x0
	v_mul_f32_e32 v74, v39, v108
	s_delay_alu instid0(VALU_DEP_3) | instskip(SKIP_2) | instid1(VALU_DEP_4)
	v_fma_f32 v94, v29, v105, -v6
	v_mul_f32_e32 v6, v40, v108
	v_fmac_f32_e32 v90, v30, v105
	v_fmac_f32_e32 v74, v40, v107
	s_delay_alu instid0(VALU_DEP_3) | instskip(SKIP_3) | instid1(VALU_DEP_2)
	v_fma_f32 v73, v39, v107, -v6
	s_wait_loadcnt 0x0
	v_mul_f32_e32 v0, v32, v36
	v_mul_f32_e32 v78, v31, v36
	v_fma_f32 v82, v31, v35, -v0
	v_mul_u32_u24_e32 v0, 0x199a, v53
	s_delay_alu instid0(VALU_DEP_3) | instskip(NEXT) | instid1(VALU_DEP_2)
	v_fmac_f32_e32 v78, v32, v35
	v_lshrrev_b32_e32 v61, 16, v0
	s_delay_alu instid0(VALU_DEP_1) | instskip(NEXT) | instid1(VALU_DEP_1)
	v_mul_lo_u16 v0, v61, 10
	v_sub_nc_u16 v62, v53, v0
	s_delay_alu instid0(VALU_DEP_1) | instskip(NEXT) | instid1(VALU_DEP_1)
	v_mul_lo_u16 v0, v62, 40
	v_and_b32_e32 v0, 0xffff, v0
	s_delay_alu instid0(VALU_DEP_1)
	v_add_co_u32 v0, s2, s10, v0
	s_wait_alu 0xf1ff
	v_add_co_ci_u32_e64 v1, null, s11, 0, s2
	s_clause 0x1
	global_load_b128 v[29:32], v[0:1], off
	global_load_b128 v[37:40], v[0:1], off offset:16
	ds_load_2addr_stride64_b64 v[45:48], v149 offset1:2
	s_clause 0x1
	scratch_store_b64 off, v[10:11], off offset:276
	scratch_store_b64 off, v[12:13], off offset:292
	s_wait_loadcnt 0x1
	v_mul_f32_e32 v6, v42, v30
	v_mul_f32_e32 v58, v41, v30
	s_delay_alu instid0(VALU_DEP_2) | instskip(NEXT) | instid1(VALU_DEP_2)
	v_fma_f32 v57, v41, v29, -v6
	v_fmac_f32_e32 v58, v42, v29
	ds_load_2addr_stride64_b64 v[41:44], v149 offset0:28 offset1:30
	s_wait_dscnt 0x0
	v_mul_f32_e32 v7, v43, v120
	v_mul_f32_e32 v6, v44, v120
	s_delay_alu instid0(VALU_DEP_2) | instskip(SKIP_1) | instid1(VALU_DEP_3)
	v_dual_mul_f32 v68, v41, v32 :: v_dual_fmac_f32 v7, v44, v119
	v_mul_f32_e32 v8, v42, v32
	v_fma_f32 v6, v43, v119, -v6
	s_delay_alu instid0(VALU_DEP_3) | instskip(NEXT) | instid1(VALU_DEP_3)
	v_fmac_f32_e32 v68, v42, v31
	v_fma_f32 v71, v41, v31, -v8
	ds_load_2addr_stride64_b64 v[41:44], v149 offset0:36 offset1:38
	s_wait_dscnt 0x0
	v_mul_f32_e32 v8, v42, v34
	v_mul_f32_e32 v88, v41, v34
	s_wait_loadcnt 0x0
	v_mul_f32_e32 v70, v43, v38
	s_delay_alu instid0(VALU_DEP_3) | instskip(SKIP_2) | instid1(VALU_DEP_4)
	v_fma_f32 v91, v41, v33, -v8
	v_mul_f32_e32 v8, v44, v38
	v_fmac_f32_e32 v88, v42, v33
	v_fmac_f32_e32 v70, v44, v37
	s_delay_alu instid0(VALU_DEP_3)
	v_fma_f32 v72, v43, v37, -v8
	ds_load_2addr_stride64_b64 v[41:44], v149 offset0:48 offset1:50
	s_wait_dscnt 0x0
	v_mul_f32_e32 v8, v44, v11
	v_mul_f32_e32 v9, v43, v11
	v_mul_f32_e32 v75, v41, v40
	s_delay_alu instid0(VALU_DEP_3) | instskip(NEXT) | instid1(VALU_DEP_3)
	v_fma_f32 v8, v43, v10, -v8
	v_dual_fmac_f32 v9, v44, v10 :: v_dual_mul_f32 v10, v42, v40
	s_delay_alu instid0(VALU_DEP_3) | instskip(NEXT) | instid1(VALU_DEP_2)
	v_fmac_f32_e32 v75, v42, v39
	v_fma_f32 v79, v41, v39, -v10
	global_load_b64 v[10:11], v[0:1], off offset:32
	ds_load_2addr_stride64_b64 v[41:44], v149 offset0:56 offset1:58
	s_wait_dscnt 0x0
	v_mul_f32_e32 v0, v42, v13
	s_delay_alu instid0(VALU_DEP_1)
	v_fma_f32 v97, v41, v12, -v0
	s_wait_loadcnt 0x0
	v_mul_f32_e32 v0, v44, v11
	v_mul_f32_e32 v80, v43, v11
	scratch_store_b64 off, v[10:11], off offset:284 ; 8-byte Folded Spill
	v_fma_f32 v81, v43, v10, -v0
	v_add_f32_e32 v0, v45, v2
	v_fmac_f32_e32 v80, v44, v10
	s_delay_alu instid0(VALU_DEP_2) | instskip(SKIP_3) | instid1(VALU_DEP_3)
	v_add_f32_e32 v10, v0, v4
	v_add_f32_e32 v0, v2, v4
	v_sub_f32_e32 v4, v2, v4
	v_mul_f32_e32 v96, v41, v13
	v_fma_f32 v16, -0.5, v0, v45
	s_delay_alu instid0(VALU_DEP_2) | instskip(SKIP_4) | instid1(VALU_DEP_2)
	v_fmac_f32_e32 v96, v42, v12
	ds_load_2addr_stride64_b64 v[41:44], v149 offset0:8 offset1:10
	s_wait_dscnt 0x0
	v_dual_fmamk_f32 v18, v14, 0x3f5db3d7, v16 :: v_dual_mul_f32 v1, v44, v128
	v_mul_f32_e32 v12, v43, v128
	v_fma_f32 v11, v43, v127, -v1
	s_delay_alu instid0(VALU_DEP_2) | instskip(NEXT) | instid1(VALU_DEP_1)
	v_dual_add_f32 v1, v6, v8 :: v_dual_fmac_f32 v12, v44, v127
	v_dual_add_f32 v2, v11, v6 :: v_dual_fmac_f32 v11, -0.5, v1
	v_add_f32_e32 v1, v7, v9
	s_delay_alu instid0(VALU_DEP_3) | instskip(SKIP_1) | instid1(VALU_DEP_4)
	v_add_f32_e32 v13, v12, v7
	v_dual_sub_f32 v7, v7, v9 :: v_dual_sub_f32 v6, v6, v8
	v_add_f32_e32 v8, v2, v8
	s_delay_alu instid0(VALU_DEP_4) | instskip(NEXT) | instid1(VALU_DEP_3)
	v_dual_fmac_f32 v12, -0.5, v1 :: v_dual_add_f32 v1, v46, v3
	v_fmamk_f32 v2, v7, 0x3f5db3d7, v11
	v_add_f32_e32 v3, v3, v5
	v_fmac_f32_e32 v11, 0xbf5db3d7, v7
	v_sub_f32_e32 v7, v92, v95
	v_add_f32_e32 v5, v1, v5
	v_fmamk_f32 v1, v6, 0xbf5db3d7, v12
	v_mul_f32_e32 v15, 0xbf5db3d7, v2
	v_add_f32_e32 v9, v13, v9
	v_fma_f32 v17, -0.5, v3, v46
	s_delay_alu instid0(VALU_DEP_4) | instskip(NEXT) | instid1(VALU_DEP_4)
	v_dual_add_f32 v0, v10, v8 :: v_dual_mul_f32 v13, 0x3f5db3d7, v1
	v_fmac_f32_e32 v15, 0.5, v1
	v_and_b32_e32 v1, 0xffff, v56
	s_delay_alu instid0(VALU_DEP_4)
	v_fmamk_f32 v19, v4, 0xbf5db3d7, v17
	v_fmac_f32_e32 v12, 0x3f5db3d7, v6
	v_fmac_f32_e32 v13, 0.5, v2
	ds_load_2addr_stride64_b64 v[43:46], v149 offset0:4 offset1:6
	v_mul_u32_u24_e32 v1, 60, v1
	v_add_f32_e32 v3, v19, v15
	global_wb scope:SCOPE_SE
	s_wait_storecnt_dscnt 0x0
	v_add_f32_e32 v2, v18, v13
	s_barrier_signal -1
	v_add_lshl_u32 v20, v1, v55, 3
	v_add_f32_e32 v1, v5, v9
	s_barrier_wait -1
	global_inv scope:SCOPE_SE
	v_dual_fmac_f32 v17, 0x3f5db3d7, v4 :: v_dual_mul_f32 v4, -0.5, v11
	ds_store_2addr_b64 v20, v[0:1], v[2:3] offset1:10
	v_sub_f32_e32 v1, v5, v9
	v_dual_mul_f32 v5, -0.5, v12 :: v_dual_add_f32 v6, v84, v99
	v_sub_f32_e32 v9, v100, v102
	s_delay_alu instid0(VALU_DEP_2) | instskip(SKIP_1) | instid1(VALU_DEP_4)
	v_fmac_f32_e32 v5, 0xbf5db3d7, v11
	v_dual_sub_f32 v11, v99, v101 :: v_dual_fmac_f32 v16, 0xbf5db3d7, v14
	v_add_f32_e32 v6, v6, v101
	v_fmac_f32_e32 v4, 0x3f5db3d7, v12
	s_delay_alu instid0(VALU_DEP_4) | instskip(NEXT) | instid1(VALU_DEP_2)
	v_dual_sub_f32 v0, v10, v8 :: v_dual_add_f32 v3, v17, v5
	v_add_f32_e32 v2, v16, v4
	ds_store_2addr_b64 v20, v[2:3], v[0:1] offset0:20 offset1:30
	v_dual_sub_f32 v0, v18, v13 :: v_dual_sub_f32 v1, v19, v15
	v_dual_sub_f32 v2, v16, v4 :: v_dual_sub_f32 v3, v17, v5
	v_sub_f32_e32 v5, v93, v98
	ds_store_2addr_b64 v20, v[0:1], v[2:3] offset0:40 offset1:50
	v_dual_add_f32 v2, v100, v102 :: v_dual_add_f32 v3, v83, v100
	v_add_f32_e32 v1, v48, v92
	s_delay_alu instid0(VALU_DEP_2) | instskip(SKIP_1) | instid1(VALU_DEP_3)
	v_dual_add_f32 v0, v92, v95 :: v_dual_fmac_f32 v83, -0.5, v2
	v_add_f32_e32 v2, v99, v101
	v_add_f32_e32 v8, v1, v95
	;; [unrolled: 1-line block ×3, first 2 shown]
	s_delay_alu instid0(VALU_DEP_3) | instskip(SKIP_3) | instid1(VALU_DEP_4)
	v_fmac_f32_e32 v84, -0.5, v2
	v_fmamk_f32 v2, v11, 0x3f5db3d7, v83
	v_fmac_f32_e32 v83, 0xbf5db3d7, v11
	v_sub_f32_e32 v11, v76, v85
	v_fmamk_f32 v1, v9, 0xbf5db3d7, v84
	s_delay_alu instid0(VALU_DEP_4) | instskip(SKIP_1) | instid1(VALU_DEP_3)
	v_mul_f32_e32 v13, 0xbf5db3d7, v2
	v_dual_fmac_f32 v84, 0x3f5db3d7, v9 :: v_dual_sub_f32 v9, v77, v86
	v_mul_f32_e32 v12, 0x3f5db3d7, v1
	s_delay_alu instid0(VALU_DEP_3) | instskip(SKIP_1) | instid1(VALU_DEP_3)
	v_dual_fmac_f32 v13, 0.5, v1 :: v_dual_fmac_f32 v48, -0.5, v0
	v_dual_add_f32 v0, v47, v93 :: v_dual_and_b32 v1, 0xffff, v52
	v_fmac_f32_e32 v12, 0.5, v2
	s_delay_alu instid0(VALU_DEP_3) | instskip(SKIP_1) | instid1(VALU_DEP_4)
	v_fmamk_f32 v16, v5, 0xbf5db3d7, v48
	v_dual_fmac_f32 v48, 0x3f5db3d7, v5 :: v_dual_mul_f32 v5, -0.5, v84
	v_add_f32_e32 v4, v0, v98
	v_mul_u32_u24_e32 v1, 60, v1
	s_delay_alu instid0(VALU_DEP_4) | instskip(NEXT) | instid1(VALU_DEP_4)
	v_add_f32_e32 v3, v16, v13
	v_dual_fmac_f32 v5, 0xbf5db3d7, v83 :: v_dual_add_f32 v0, v93, v98
	s_delay_alu instid0(VALU_DEP_3) | instskip(SKIP_1) | instid1(VALU_DEP_3)
	v_add_lshl_u32 v17, v1, v54, 3
	v_add_f32_e32 v1, v8, v6
	v_fma_f32 v14, -0.5, v0, v47
	v_add_f32_e32 v0, v4, v10
	scratch_store_b32 off, v17, off offset:316 ; 4-byte Folded Spill
	v_fmamk_f32 v15, v7, 0x3f5db3d7, v14
	v_dual_fmac_f32 v14, 0xbf5db3d7, v7 :: v_dual_add_f32 v7, v87, v90
	s_delay_alu instid0(VALU_DEP_2) | instskip(NEXT) | instid1(VALU_DEP_2)
	v_add_f32_e32 v2, v15, v12
	v_fma_f32 v7, -0.5, v7, v44
	ds_store_2addr_b64 v17, v[0:1], v[2:3] offset1:10
	v_sub_f32_e32 v0, v4, v10
	v_sub_f32_e32 v1, v8, v6
	;; [unrolled: 1-line block ×3, first 2 shown]
	v_dual_mul_f32 v4, -0.5, v83 :: v_dual_add_f32 v3, v48, v5
	s_delay_alu instid0(VALU_DEP_1) | instskip(NEXT) | instid1(VALU_DEP_1)
	v_fmac_f32_e32 v4, 0x3f5db3d7, v84
	v_add_f32_e32 v2, v14, v4
	ds_store_2addr_b64 v17, v[2:3], v[0:1] offset0:20 offset1:30
	v_sub_f32_e32 v1, v48, v5
	v_dual_sub_f32 v5, v89, v94 :: v_dual_sub_f32 v2, v15, v12
	v_sub_f32_e32 v3, v16, v13
	v_or_b32_e32 v48, 0x500, v200
	s_delay_alu instid0(VALU_DEP_3) | instskip(SKIP_1) | instid1(VALU_DEP_3)
	v_fmamk_f32 v18, v5, 0xbf5db3d7, v7
	v_dual_fmac_f32 v7, 0x3f5db3d7, v5 :: v_dual_sub_f32 v0, v14, v4
	v_mul_u32_u24_e32 v56, 0x889, v48
	ds_store_2addr_b64 v17, v[2:3], v[0:1] offset0:40 offset1:50
	v_dual_add_f32 v1, v77, v86 :: v_dual_add_f32 v2, v63, v77
	v_dual_add_f32 v3, v64, v76 :: v_dual_add_f32 v0, v43, v89
	v_lshrrev_b32_e32 v146, 17, v56
	s_delay_alu instid0(VALU_DEP_3) | instskip(NEXT) | instid1(VALU_DEP_4)
	v_fmac_f32_e32 v63, -0.5, v1
	v_dual_add_f32 v1, v76, v85 :: v_dual_add_f32 v10, v2, v86
	s_delay_alu instid0(VALU_DEP_4) | instskip(NEXT) | instid1(VALU_DEP_3)
	v_add_f32_e32 v12, v3, v85
	v_fmamk_f32 v2, v11, 0x3f5db3d7, v63
	s_delay_alu instid0(VALU_DEP_3) | instskip(SKIP_1) | instid1(VALU_DEP_3)
	v_dual_fmac_f32 v64, -0.5, v1 :: v_dual_add_f32 v1, v44, v87
	v_fmac_f32_e32 v63, 0xbf5db3d7, v11
	v_dual_sub_f32 v11, v88, v96 :: v_dual_mul_f32 v14, 0xbf5db3d7, v2
	s_delay_alu instid0(VALU_DEP_3) | instskip(NEXT) | instid1(VALU_DEP_4)
	v_add_f32_e32 v8, v1, v90
	v_fmamk_f32 v1, v9, 0xbf5db3d7, v64
	v_fmac_f32_e32 v64, 0x3f5db3d7, v9
	v_sub_f32_e32 v9, v91, v97
	s_delay_alu instid0(VALU_DEP_3) | instskip(NEXT) | instid1(VALU_DEP_3)
	v_mul_f32_e32 v13, 0x3f5db3d7, v1
	v_dual_mul_f32 v5, -0.5, v64 :: v_dual_fmac_f32 v14, 0.5, v1
	v_add_f32_e32 v1, v8, v12
	s_delay_alu instid0(VALU_DEP_3) | instskip(NEXT) | instid1(VALU_DEP_3)
	v_fmac_f32_e32 v13, 0.5, v2
	v_dual_fmac_f32 v5, 0xbf5db3d7, v63 :: v_dual_add_f32 v4, v0, v94
	v_add_f32_e32 v0, v89, v94
	v_mad_u16 v2, v65, 60, v66
	v_add_f32_e32 v3, v18, v14
	v_or_b32_e32 v65, 0x280, v200
	s_delay_alu instid0(VALU_DEP_4) | instskip(NEXT) | instid1(VALU_DEP_4)
	v_fma_f32 v15, -0.5, v0, v43
	v_and_b32_e32 v16, 0xffff, v2
	v_add_f32_e32 v0, v4, v10
	s_delay_alu instid0(VALU_DEP_4) | instskip(NEXT) | instid1(VALU_DEP_4)
	v_mul_u32_u24_e32 v66, 0x445, v65
	v_fmamk_f32 v17, v6, 0x3f5db3d7, v15
	v_dual_fmac_f32 v15, 0xbf5db3d7, v6 :: v_dual_add_f32 v6, v74, v88
	v_lshlrev_b32_e32 v16, 3, v16
	s_delay_alu instid0(VALU_DEP_4) | instskip(NEXT) | instid1(VALU_DEP_3)
	v_lshrrev_b32_e32 v136, 16, v66
	v_add_f32_e32 v6, v6, v96
	v_add_f32_e32 v2, v17, v13
	ds_store_2addr_b64 v16, v[0:1], v[2:3] offset1:10
	v_sub_f32_e32 v0, v4, v10
	v_dual_mul_f32 v4, -0.5, v63 :: v_dual_sub_f32 v1, v8, v12
	s_delay_alu instid0(VALU_DEP_1) | instskip(SKIP_1) | instid1(VALU_DEP_2)
	v_dual_add_f32 v3, v7, v5 :: v_dual_fmac_f32 v4, 0x3f5db3d7, v64
	v_mul_u32_u24_e32 v64, 0x445, v53
	v_add_f32_e32 v2, v15, v4
	s_delay_alu instid0(VALU_DEP_2)
	v_lshrrev_b32_e32 v134, 16, v64
	ds_store_2addr_b64 v16, v[2:3], v[0:1] offset0:20 offset1:30
	v_sub_f32_e32 v0, v17, v13
	v_sub_f32_e32 v2, v15, v4
	;; [unrolled: 1-line block ×6, first 2 shown]
	ds_store_2addr_b64 v16, v[0:1], v[2:3] offset0:40 offset1:50
	v_dual_add_f32 v2, v91, v97 :: v_dual_add_f32 v3, v73, v91
	v_dual_add_f32 v1, v46, v67 :: v_dual_add_f32 v0, v67, v78
	v_or_b32_e32 v67, 0x300, v200
	s_delay_alu instid0(VALU_DEP_3) | instskip(NEXT) | instid1(VALU_DEP_3)
	v_dual_fmac_f32 v73, -0.5, v2 :: v_dual_add_f32 v2, v88, v96
	v_add_f32_e32 v8, v1, v78
	s_delay_alu instid0(VALU_DEP_4) | instskip(SKIP_4) | instid1(VALU_DEP_4)
	v_fmac_f32_e32 v46, -0.5, v0
	v_add_f32_e32 v0, v45, v69
	v_add_f32_e32 v10, v3, v97
	v_fmac_f32_e32 v74, -0.5, v2
	v_fmamk_f32 v2, v11, 0x3f5db3d7, v73
	v_dual_fmac_f32 v73, 0xbf5db3d7, v11 :: v_dual_add_f32 v4, v0, v82
	v_sub_f32_e32 v11, v70, v80
	s_delay_alu instid0(VALU_DEP_4)
	v_fmamk_f32 v1, v9, 0xbf5db3d7, v74
	v_add_f32_e32 v0, v69, v82
	v_mul_f32_e32 v13, 0xbf5db3d7, v2
	v_fmac_f32_e32 v74, 0x3f5db3d7, v9
	v_sub_f32_e32 v9, v72, v81
	v_mul_f32_e32 v12, 0x3f5db3d7, v1
	v_fma_f32 v14, -0.5, v0, v45
	scratch_store_b32 off, v16, off offset:312 ; 4-byte Folded Spill
	v_fmac_f32_e32 v13, 0.5, v1
	v_fmamk_f32 v17, v5, 0xbf5db3d7, v46
	v_fmac_f32_e32 v12, 0.5, v2
	v_mad_u16 v2, v59, 60, v60
	v_fmamk_f32 v16, v7, 0x3f5db3d7, v14
	v_add_f32_e32 v0, v4, v10
	v_add_f32_e32 v1, v8, v6
	;; [unrolled: 1-line block ×3, first 2 shown]
	s_delay_alu instid0(VALU_DEP_4) | instskip(SKIP_2) | instid1(VALU_DEP_3)
	v_dual_add_f32 v2, v16, v12 :: v_dual_and_b32 v15, 0xffff, v2
	v_dual_fmac_f32 v46, 0x3f5db3d7, v5 :: v_dual_mul_f32 v5, -0.5, v74
	v_fmac_f32_e32 v14, 0xbf5db3d7, v7
	v_lshlrev_b32_e32 v15, 3, v15
	scratch_store_b32 off, v20, off offset:308 ; 4-byte Folded Spill
	v_sub_f32_e32 v7, v68, v75
	v_fmac_f32_e32 v5, 0xbf5db3d7, v73
	ds_store_2addr_b64 v15, v[0:1], v[2:3] offset1:10
	v_sub_f32_e32 v0, v4, v10
	v_dual_mul_f32 v4, -0.5, v73 :: v_dual_sub_f32 v1, v8, v6
	v_add_f32_e32 v3, v46, v5
	v_add_f32_e32 v6, v58, v70
	scratch_store_b32 off, v15, off offset:300 ; 4-byte Folded Spill
	v_fmac_f32_e32 v4, 0x3f5db3d7, v74
	v_add_f32_e32 v6, v6, v80
	s_delay_alu instid0(VALU_DEP_2)
	v_add_f32_e32 v2, v14, v4
	ds_store_2addr_b64 v15, v[2:3], v[0:1] offset0:20 offset1:30
	v_sub_f32_e32 v1, v46, v5
	v_sub_f32_e32 v0, v14, v4
	v_dual_sub_f32 v2, v16, v12 :: v_dual_sub_f32 v3, v17, v13
	v_sub_f32_e32 v5, v71, v79
	ds_store_2addr_b64 v15, v[2:3], v[0:1] offset0:40 offset1:50
	v_dual_add_f32 v2, v72, v81 :: v_dual_add_f32 v3, v57, v72
	v_dual_add_f32 v0, v68, v75 :: v_dual_add_f32 v1, v42, v68
	v_mul_u32_u24_e32 v68, 0x445, v67
	s_delay_alu instid0(VALU_DEP_3) | instskip(NEXT) | instid1(VALU_DEP_3)
	v_dual_fmac_f32 v57, -0.5, v2 :: v_dual_add_f32 v2, v70, v80
	v_fmac_f32_e32 v42, -0.5, v0
	v_add_f32_e32 v0, v41, v71
	v_add_f32_e32 v8, v1, v75
	;; [unrolled: 1-line block ×3, first 2 shown]
	v_fmac_f32_e32 v58, -0.5, v2
	v_fmamk_f32 v2, v11, 0x3f5db3d7, v57
	v_add_f32_e32 v4, v0, v79
	v_dual_add_f32 v0, v71, v79 :: v_dual_fmamk_f32 v17, v5, 0xbf5db3d7, v42
	s_delay_alu instid0(VALU_DEP_4) | instskip(NEXT) | instid1(VALU_DEP_4)
	v_fmamk_f32 v1, v9, 0xbf5db3d7, v58
	v_mul_f32_e32 v13, 0xbf5db3d7, v2
	v_fmac_f32_e32 v57, 0xbf5db3d7, v11
	s_delay_alu instid0(VALU_DEP_4) | instskip(SKIP_3) | instid1(VALU_DEP_4)
	v_fma_f32 v14, -0.5, v0, v41
	v_add_f32_e32 v0, v4, v10
	v_mul_f32_e32 v12, 0x3f5db3d7, v1
	v_fmac_f32_e32 v13, 0.5, v1
	v_dual_add_f32 v1, v8, v6 :: v_dual_fmamk_f32 v16, v7, 0x3f5db3d7, v14
	v_fmac_f32_e32 v58, 0x3f5db3d7, v9
	s_delay_alu instid0(VALU_DEP_4) | instskip(SKIP_2) | instid1(VALU_DEP_4)
	v_fmac_f32_e32 v12, 0.5, v2
	v_mad_u16 v2, v61, 60, v62
	v_add_f32_e32 v3, v17, v13
	v_dual_fmac_f32 v42, 0x3f5db3d7, v5 :: v_dual_mul_f32 v5, -0.5, v58
	v_fmac_f32_e32 v14, 0xbf5db3d7, v7
	s_delay_alu instid0(VALU_DEP_4) | instskip(SKIP_1) | instid1(VALU_DEP_4)
	v_dual_add_f32 v2, v16, v12 :: v_dual_and_b32 v15, 0xffff, v2
	v_lshrrev_b32_e32 v138, 16, v68
	v_fmac_f32_e32 v5, 0xbf5db3d7, v57
	v_or_b32_e32 v41, 0x380, v200
	s_delay_alu instid0(VALU_DEP_4) | instskip(NEXT) | instid1(VALU_DEP_2)
	v_lshlrev_b32_e32 v15, 3, v15
	v_mul_u32_u24_e32 v63, 0x445, v41
	ds_store_2addr_b64 v15, v[0:1], v[2:3] offset1:10
	v_sub_f32_e32 v0, v4, v10
	v_dual_mul_f32 v4, -0.5, v57 :: v_dual_sub_f32 v1, v8, v6
	v_add_f32_e32 v3, v42, v5
	scratch_store_b32 off, v15, off offset:304 ; 4-byte Folded Spill
	v_lshrrev_b32_e32 v140, 16, v63
	v_fmac_f32_e32 v4, 0x3f5db3d7, v58
	v_or_b32_e32 v57, 0x580, v200
	s_delay_alu instid0(VALU_DEP_2)
	v_add_f32_e32 v2, v14, v4
	ds_store_2addr_b64 v15, v[2:3], v[0:1] offset0:20 offset1:30
	v_sub_f32_e32 v1, v42, v5
	v_sub_f32_e32 v0, v14, v4
	v_dual_sub_f32 v2, v16, v12 :: v_dual_sub_f32 v3, v17, v13
	v_mul_lo_u16 v42, 0x89, v51
	ds_store_2addr_b64 v15, v[2:3], v[0:1] offset0:40 offset1:50
	v_mul_u32_u24_e32 v0, 0x445, v50
	v_lshrrev_b16 v52, 13, v42
	global_wb scope:SCOPE_SE
	s_wait_storecnt_dscnt 0x0
	s_barrier_signal -1
	s_barrier_wait -1
	v_lshrrev_b32_e32 v43, 16, v0
	v_mul_lo_u16 v0, v52, 60
	global_inv scope:SCOPE_SE
	v_mul_lo_u16 v1, v43, 60
	v_sub_nc_u16 v0, v51, v0
	s_delay_alu instid0(VALU_DEP_2) | instskip(SKIP_1) | instid1(VALU_DEP_3)
	v_sub_nc_u16 v69, v50, v1
	v_mul_u32_u24_e32 v1, 0x445, v49
	v_and_b32_e32 v70, 0xff, v0
	s_delay_alu instid0(VALU_DEP_3) | instskip(NEXT) | instid1(VALU_DEP_3)
	v_and_b32_e32 v0, 0xffff, v69
	v_lshrrev_b32_e32 v28, 16, v1
	v_mul_lo_u16 v1, 0x89, v200
	s_delay_alu instid0(VALU_DEP_3) | instskip(NEXT) | instid1(VALU_DEP_2)
	v_lshlrev_b32_e32 v0, 3, v0
	v_lshrrev_b16 v131, 13, v1
	s_delay_alu instid0(VALU_DEP_4) | instskip(NEXT) | instid1(VALU_DEP_1)
	v_mul_lo_u16 v1, v28, 60
	v_sub_nc_u16 v132, v49, v1
	s_delay_alu instid0(VALU_DEP_3) | instskip(SKIP_1) | instid1(VALU_DEP_3)
	v_mul_lo_u16 v1, v131, 60
	v_and_b32_e32 v131, 0xffff, v131
	v_and_b32_e32 v2, 0xffff, v132
	s_delay_alu instid0(VALU_DEP_3) | instskip(NEXT) | instid1(VALU_DEP_3)
	v_sub_nc_u16 v1, v200, v1
	v_mul_u32_u24_e32 v131, 0x78, v131
	s_delay_alu instid0(VALU_DEP_3) | instskip(NEXT) | instid1(VALU_DEP_3)
	v_lshlrev_b32_e32 v2, 3, v2
	v_and_b32_e32 v133, 0xff, v1
	v_lshlrev_b32_e32 v1, 3, v70
	s_delay_alu instid0(VALU_DEP_2)
	v_add_lshl_u32 v131, v131, v133, 3
	global_load_b64 v[10:11], v1, s[10:11] offset:400
	s_wait_loadcnt 0x0
	scratch_store_b64 off, v[10:11], off offset:328 ; 8-byte Folded Spill
	s_clause 0x1
	global_load_b64 v[8:9], v0, s[10:11] offset:400
	global_load_b64 v[4:5], v2, s[10:11] offset:400
	ds_load_2addr_stride64_b64 v[44:47], v149 offset0:32 offset1:34
	v_lshlrev_b32_e32 v0, 3, v133
	global_load_b64 v[6:7], v0, s[10:11] offset:400
	s_wait_dscnt 0x0
	v_mul_f32_e32 v0, v45, v11
	v_mul_f32_e32 v3, v44, v11
	s_delay_alu instid0(VALU_DEP_2) | instskip(NEXT) | instid1(VALU_DEP_2)
	v_fma_f32 v2, v44, v10, -v0
	v_fmac_f32_e32 v3, v45, v10
	s_wait_loadcnt 0x2
	v_dual_mov_b32 v11, v9 :: v_dual_mov_b32 v10, v8
	s_delay_alu instid0(VALU_DEP_1)
	v_mul_f32_e32 v0, v47, v11
	v_mul_f32_e32 v9, v46, v11
	scratch_store_b64 off, v[10:11], off offset:320 ; 8-byte Folded Spill
	v_fma_f32 v8, v46, v10, -v0
	v_fmac_f32_e32 v9, v47, v10
	ds_load_2addr_stride64_b64 v[44:47], v149 offset0:36 offset1:38
	v_mul_lo_u16 v0, v134, 60
	s_delay_alu instid0(VALU_DEP_1) | instskip(NEXT) | instid1(VALU_DEP_1)
	v_sub_nc_u16 v135, v53, v0
	v_and_b32_e32 v0, 0xffff, v135
	s_wait_loadcnt_dscnt 0x100
	s_delay_alu instid0(VALU_DEP_1) | instskip(SKIP_4) | instid1(VALU_DEP_3)
	v_dual_mul_f32 v1, v45, v5 :: v_dual_lshlrev_b32 v0, 3, v0
	global_load_b64 v[18:19], v0, s[10:11] offset:400
	v_mul_f32_e32 v11, v44, v5
	v_fma_f32 v10, v44, v4, -v1
	v_mul_lo_u16 v1, v136, 60
	v_fmac_f32_e32 v11, v45, v4
	s_delay_alu instid0(VALU_DEP_2) | instskip(SKIP_1) | instid1(VALU_DEP_1)
	v_sub_nc_u16 v137, v65, v1
	v_mul_lo_u16 v1, v138, 60
	v_sub_nc_u16 v139, v67, v1
	s_delay_alu instid0(VALU_DEP_3) | instskip(NEXT) | instid1(VALU_DEP_1)
	v_and_b32_e32 v1, 0xffff, v137
	v_lshlrev_b32_e32 v1, 3, v1
	global_load_b64 v[14:15], v1, s[10:11] offset:400
	scratch_store_b64 off, v[4:5], off offset:336 ; 8-byte Folded Spill
	v_mul_lo_u16 v4, v140, 60
	s_delay_alu instid0(VALU_DEP_1) | instskip(SKIP_1) | instid1(VALU_DEP_2)
	v_sub_nc_u16 v141, v41, v4
	v_and_b32_e32 v4, 0xffff, v139
	v_and_b32_e32 v5, 0xffff, v141
	s_delay_alu instid0(VALU_DEP_2) | instskip(NEXT) | instid1(VALU_DEP_2)
	v_lshlrev_b32_e32 v4, 3, v4
	v_lshlrev_b32_e32 v5, 3, v5
	s_wait_loadcnt 0x1
	scratch_store_b64 off, v[18:19], off offset:360 ; 8-byte Folded Spill
	v_mul_f32_e32 v0, v47, v19
	v_mul_f32_e32 v17, v46, v19
	s_delay_alu instid0(VALU_DEP_2) | instskip(NEXT) | instid1(VALU_DEP_2)
	v_fma_f32 v16, v46, v18, -v0
	v_fmac_f32_e32 v17, v47, v18
	s_wait_loadcnt 0x0
	scratch_store_b64 off, v[14:15], off offset:352 ; 8-byte Folded Spill
	s_clause 0x1
	global_load_b64 v[12:13], v4, s[10:11] offset:400
	global_load_b64 v[4:5], v5, s[10:11] offset:400
	ds_load_2addr_stride64_b64 v[44:47], v149 offset0:40 offset1:42
	ds_load_2addr_stride64_b64 v[58:61], v149 offset0:44 offset1:46
	s_wait_dscnt 0x1
	v_mul_f32_e32 v0, v45, v15
	v_mul_f32_e32 v19, v44, v15
	s_delay_alu instid0(VALU_DEP_2) | instskip(SKIP_1) | instid1(VALU_DEP_3)
	v_fma_f32 v18, v44, v14, -v0
	v_or_b32_e32 v44, 0x400, v200
	v_fmac_f32_e32 v19, v45, v14
	s_delay_alu instid0(VALU_DEP_2) | instskip(NEXT) | instid1(VALU_DEP_1)
	v_mul_u32_u24_e32 v45, 0x889, v44
	v_lshrrev_b32_e32 v142, 17, v45
	s_wait_loadcnt 0x1
	v_mul_f32_e32 v0, v47, v13
	v_mul_f32_e32 v25, v46, v13
	s_wait_loadcnt_dscnt 0x0
	v_mul_f32_e32 v27, v58, v5
	v_mul_f32_e32 v1, v59, v5
	scratch_store_b64 off, v[12:13], off offset:344 ; 8-byte Folded Spill
	v_fma_f32 v24, v46, v12, -v0
	v_mul_lo_u16 v0, v142, 60
	v_fmac_f32_e32 v25, v47, v12
	v_or_b32_e32 v47, 0x480, v200
	v_fmac_f32_e32 v27, v59, v4
	v_mul_u32_u24_e32 v59, 0x889, v57
	v_sub_nc_u16 v143, v44, v0
	v_fma_f32 v26, v58, v4, -v1
	v_mul_u32_u24_e32 v55, 0x889, v47
	v_or_b32_e32 v46, 0x600, v200
	v_lshrrev_b32_e32 v148, 17, v59
	v_and_b32_e32 v0, 0xffff, v143
	v_or_b32_e32 v58, 0x680, v200
	v_lshrrev_b32_e32 v144, 17, v55
	v_mul_u32_u24_e32 v54, 0x889, v46
	s_delay_alu instid0(VALU_DEP_4) | instskip(NEXT) | instid1(VALU_DEP_3)
	v_lshlrev_b32_e32 v0, 3, v0
	v_mul_lo_u16 v1, v144, 60
	s_delay_alu instid0(VALU_DEP_3)
	v_lshrrev_b32_e32 v151, 17, v54
	global_load_b64 v[20:21], v0, s[10:11] offset:400
	scratch_store_b64 off, v[4:5], off offset:368 ; 8-byte Folded Spill
	v_sub_nc_u16 v145, v47, v1
	v_mul_lo_u16 v1, v146, 60
	v_mul_lo_u16 v4, v148, 60
	s_delay_alu instid0(VALU_DEP_2) | instskip(NEXT) | instid1(VALU_DEP_2)
	v_sub_nc_u16 v147, v48, v1
	v_sub_nc_u16 v150, v57, v4
	v_and_b32_e32 v1, 0xffff, v145
	s_delay_alu instid0(VALU_DEP_3) | instskip(NEXT) | instid1(VALU_DEP_3)
	v_and_b32_e32 v4, 0xffff, v147
	v_and_b32_e32 v5, 0xffff, v150
	s_delay_alu instid0(VALU_DEP_3) | instskip(NEXT) | instid1(VALU_DEP_3)
	v_lshlrev_b32_e32 v1, 3, v1
	v_lshlrev_b32_e32 v4, 3, v4
	s_delay_alu instid0(VALU_DEP_3)
	v_lshlrev_b32_e32 v5, 3, v5
	s_wait_loadcnt 0x0
	scratch_store_b64 off, v[20:21], off offset:392 ; 8-byte Folded Spill
	s_clause 0x2
	global_load_b64 v[14:15], v1, s[10:11] offset:400
	global_load_b64 v[12:13], v4, s[10:11] offset:400
	global_load_b64 v[4:5], v5, s[10:11] offset:400
	ds_load_2addr_stride64_b64 v[71:74], v149 offset0:48 offset1:50
	v_mul_f32_e32 v0, v61, v21
	v_mul_f32_e32 v82, v60, v21
	s_clause 0x1
	scratch_store_b64 off, v[6:7], off offset:416
	scratch_store_b32 off, v131, off offset:452
	v_fma_f32 v81, v60, v20, -v0
	v_fmac_f32_e32 v82, v61, v20
	v_mul_u32_u24_e32 v61, 0x889, v58
	v_or_b32_e32 v60, 0x700, v200
	s_delay_alu instid0(VALU_DEP_2) | instskip(NEXT) | instid1(VALU_DEP_2)
	v_lshrrev_b32_e32 v153, 17, v61
	v_mul_u32_u24_e32 v62, 0x889, v60
	s_delay_alu instid0(VALU_DEP_1)
	v_lshrrev_b32_e32 v155, 17, v62
	s_wait_loadcnt_dscnt 0x200
	v_mul_f32_e32 v0, v72, v15
	v_mul_f32_e32 v84, v71, v15
	s_wait_loadcnt 0x1
	v_mul_f32_e32 v90, v73, v13
	scratch_store_b64 off, v[14:15], off offset:384 ; 8-byte Folded Spill
	s_wait_loadcnt 0x0
	scratch_store_b64 off, v[4:5], off offset:400 ; 8-byte Folded Spill
	v_fma_f32 v83, v71, v14, -v0
	v_mul_f32_e32 v0, v74, v13
	v_fmac_f32_e32 v84, v72, v14
	v_fmac_f32_e32 v90, v74, v12
	scratch_store_b64 off, v[12:13], off offset:376 ; 8-byte Folded Spill
	v_fma_f32 v89, v73, v12, -v0
	v_mul_lo_u16 v0, v151, 60
	ds_load_2addr_stride64_b64 v[71:74], v149 offset0:52 offset1:54
	v_sub_nc_u16 v152, v46, v0
	s_delay_alu instid0(VALU_DEP_1) | instskip(NEXT) | instid1(VALU_DEP_1)
	v_and_b32_e32 v0, 0xffff, v152
	v_lshlrev_b32_e32 v0, 3, v0
	global_load_b64 v[14:15], v0, s[10:11] offset:400
	s_wait_dscnt 0x0
	v_mul_f32_e32 v1, v72, v5
	v_mul_f32_e32 v92, v71, v5
	s_delay_alu instid0(VALU_DEP_2) | instskip(SKIP_1) | instid1(VALU_DEP_3)
	v_fma_f32 v91, v71, v4, -v1
	v_mul_lo_u16 v1, v153, 60
	v_fmac_f32_e32 v92, v72, v4
	s_delay_alu instid0(VALU_DEP_2) | instskip(SKIP_1) | instid1(VALU_DEP_1)
	v_sub_nc_u16 v154, v58, v1
	v_mul_lo_u16 v1, v155, 60
	v_sub_nc_u16 v156, v60, v1
	s_delay_alu instid0(VALU_DEP_3) | instskip(NEXT) | instid1(VALU_DEP_2)
	v_and_b32_e32 v1, 0xffff, v154
	v_and_b32_e32 v4, 0xffff, v156
	s_delay_alu instid0(VALU_DEP_2) | instskip(NEXT) | instid1(VALU_DEP_2)
	v_lshlrev_b32_e32 v1, 3, v1
	v_lshlrev_b32_e32 v4, 3, v4
	s_clause 0x1
	global_load_b64 v[12:13], v1, s[10:11] offset:400
	global_load_b64 v[4:5], v4, s[10:11] offset:400
	s_wait_loadcnt 0x2
	v_mul_f32_e32 v0, v74, v15
	v_mul_f32_e32 v98, v73, v15
	scratch_store_b64 off, v[14:15], off offset:432 ; 8-byte Folded Spill
	v_fma_f32 v97, v73, v14, -v0
	v_fmac_f32_e32 v98, v74, v14
	ds_load_2addr_stride64_b64 v[71:74], v149 offset0:56 offset1:58
	s_wait_loadcnt_dscnt 0x100
	v_mul_f32_e32 v0, v72, v13
	v_mul_f32_e32 v100, v71, v13
	scratch_store_b64 off, v[12:13], off offset:424 ; 8-byte Folded Spill
	s_wait_loadcnt 0x0
	scratch_store_b64 off, v[4:5], off offset:408 ; 8-byte Folded Spill
	v_fma_f32 v99, v71, v12, -v0
	v_mul_f32_e32 v0, v74, v5
	v_mul_f32_e32 v102, v73, v5
	v_fmac_f32_e32 v100, v72, v12
	s_delay_alu instid0(VALU_DEP_3) | instskip(NEXT) | instid1(VALU_DEP_3)
	v_fma_f32 v101, v73, v4, -v0
	v_fmac_f32_e32 v102, v74, v4
	ds_load_2addr_stride64_b64 v[71:74], v149 offset0:28 offset1:30
	s_wait_dscnt 0x0
	v_mul_f32_e32 v0, v74, v7
	v_mul_f32_e32 v1, v73, v7
	v_dual_sub_f32 v101, v71, v101 :: v_dual_sub_f32 v102, v72, v102
	s_delay_alu instid0(VALU_DEP_3) | instskip(NEXT) | instid1(VALU_DEP_3)
	v_fma_f32 v0, v73, v6, -v0
	v_fmac_f32_e32 v1, v74, v6
	ds_load_2addr_stride64_b64 v[73:76], v149 offset1:2
	v_fma_f32 v71, v71, 2.0, -v101
	v_fma_f32 v72, v72, 2.0, -v102
	s_wait_dscnt 0x0
	v_dual_sub_f32 v0, v73, v0 :: v_dual_sub_f32 v1, v74, v1
	v_dual_sub_f32 v2, v75, v2 :: v_dual_sub_f32 v3, v76, v3
	s_delay_alu instid0(VALU_DEP_2) | instskip(NEXT) | instid1(VALU_DEP_3)
	v_fma_f32 v4, v73, 2.0, -v0
	v_fma_f32 v5, v74, 2.0, -v1
	s_delay_alu instid0(VALU_DEP_3) | instskip(NEXT) | instid1(VALU_DEP_4)
	v_fma_f32 v6, v75, 2.0, -v2
	v_fma_f32 v7, v76, 2.0, -v3
	ds_load_2addr_stride64_b64 v[73:76], v149 offset0:4 offset1:6
	s_wait_dscnt 0x0
	v_dual_sub_f32 v8, v73, v8 :: v_dual_sub_f32 v9, v74, v9
	v_dual_sub_f32 v10, v75, v10 :: v_dual_sub_f32 v11, v76, v11
	s_delay_alu instid0(VALU_DEP_2) | instskip(NEXT) | instid1(VALU_DEP_3)
	v_fma_f32 v12, v73, 2.0, -v8
	v_fma_f32 v13, v74, 2.0, -v9
	s_delay_alu instid0(VALU_DEP_3) | instskip(NEXT) | instid1(VALU_DEP_4)
	v_fma_f32 v14, v75, 2.0, -v10
	v_fma_f32 v15, v76, 2.0, -v11
	ds_load_2addr_stride64_b64 v[73:76], v149 offset0:8 offset1:10
	;; [unrolled: 10-line block ×6, first 2 shown]
	global_wb scope:SCOPE_SE
	s_wait_storecnt_dscnt 0x0
	s_barrier_signal -1
	s_barrier_wait -1
	global_inv scope:SCOPE_SE
	ds_store_2addr_b64 v131, v[4:5], v[0:1] offset1:60
	v_and_b32_e32 v0, 0xffff, v52
	s_delay_alu instid0(VALU_DEP_1) | instskip(NEXT) | instid1(VALU_DEP_1)
	v_mul_u32_u24_e32 v0, 0x78, v0
	v_add_lshl_u32 v0, v0, v70, 3
	v_sub_f32_e32 v97, v73, v97
	scratch_store_b32 off, v0, off offset:448 ; 4-byte Folded Spill
	ds_store_2addr_b64 v0, v[6:7], v[2:3] offset1:60
	v_mad_u16 v0, 0x78, v43, v69
	v_sub_f32_e32 v98, v74, v98
	v_fma_f32 v73, v73, 2.0, -v97
	v_dual_sub_f32 v99, v75, v99 :: v_dual_sub_f32 v100, v76, v100
	s_delay_alu instid0(VALU_DEP_4) | instskip(NEXT) | instid1(VALU_DEP_4)
	v_and_b32_e32 v0, 0xffff, v0
	v_fma_f32 v74, v74, 2.0, -v98
	v_mul_u32_u24_e32 v3, 0x223, v50
	s_delay_alu instid0(VALU_DEP_4) | instskip(SKIP_2) | instid1(VALU_DEP_4)
	v_fma_f32 v75, v75, 2.0, -v99
	v_fma_f32 v76, v76, 2.0, -v100
	v_lshlrev_b32_e32 v0, 3, v0
	v_lshrrev_b32_e32 v52, 16, v3
	scratch_store_b32 off, v0, off offset:444 ; 4-byte Folded Spill
	ds_store_2addr_b64 v0, v[12:13], v[8:9] offset1:60
	v_mad_u16 v0, 0x78, v28, v132
	v_mul_lo_u16 v3, 0x78, v52
	v_lshrrev_b32_e32 v132, 17, v64
	s_delay_alu instid0(VALU_DEP_3) | instskip(NEXT) | instid1(VALU_DEP_3)
	v_and_b32_e32 v0, 0xffff, v0
	v_sub_nc_u16 v50, v50, v3
	s_delay_alu instid0(VALU_DEP_2) | instskip(SKIP_4) | instid1(VALU_DEP_2)
	v_lshlrev_b32_e32 v0, 3, v0
	scratch_store_b32 off, v0, off offset:440 ; 4-byte Folded Spill
	ds_store_2addr_b64 v0, v[14:15], v[10:11] offset1:60
	v_mad_u16 v0, 0x78, v134, v135
	v_lshrrev_b32_e32 v134, 17, v66
	v_and_b32_e32 v0, 0xffff, v0
	s_delay_alu instid0(VALU_DEP_1) | instskip(SKIP_4) | instid1(VALU_DEP_2)
	v_lshlrev_b32_e32 v0, 3, v0
	scratch_store_b32 off, v0, off offset:456 ; 4-byte Folded Spill
	ds_store_2addr_b64 v0, v[20:21], v[16:17] offset1:60
	v_mad_u16 v0, 0x78, v136, v137
	v_lshrrev_b32_e32 v136, 17, v68
	v_and_b32_e32 v0, 0xffff, v0
	s_delay_alu instid0(VALU_DEP_1) | instskip(SKIP_4) | instid1(VALU_DEP_2)
	;; [unrolled: 7-line block ×9, first 2 shown]
	v_lshlrev_b32_e32 v0, 3, v0
	scratch_store_b32 off, v0, off offset:480 ; 4-byte Folded Spill
	ds_store_2addr_b64 v0, v[73:74], v[97:98] offset1:60
	v_mad_u16 v0, 0x78, v153, v154
	v_lshrrev_b32_e32 v153, 18, v62
	v_and_b32_e32 v0, 0xffff, v0
	s_delay_alu instid0(VALU_DEP_1)
	v_lshlrev_b32_e32 v0, 3, v0
	scratch_store_b32 off, v0, off offset:492 ; 4-byte Folded Spill
	ds_store_2addr_b64 v0, v[75:76], v[99:100] offset1:60
	v_mad_u16 v0, 0x78, v155, v156
	v_mul_u32_u24_e32 v100, 0x223, v49
	v_lshrrev_b16 v99, 14, v42
	s_delay_alu instid0(VALU_DEP_3) | instskip(NEXT) | instid1(VALU_DEP_2)
	v_and_b32_e32 v0, 0xffff, v0
	v_mul_lo_u16 v3, 0x78, v99
	s_delay_alu instid0(VALU_DEP_2) | instskip(NEXT) | instid1(VALU_DEP_2)
	v_lshlrev_b32_e32 v0, 3, v0
	v_sub_nc_u16 v3, v51, v3
	ds_store_2addr_b64 v0, v[71:72], v[101:102] offset1:60
	v_lshrrev_b32_e32 v101, 16, v100
	scratch_store_b32 off, v0, off offset:496 ; 4-byte Folded Spill
	v_add_co_u32 v0, s2, 0xffffff88, v200
	s_wait_alu 0xf1ff
	v_add_co_ci_u32_e64 v1, null, 0, -1, s2
	v_mul_lo_u16 v4, 0x78, v101
	s_wait_alu 0xfffd
	v_dual_cndmask_b32 v0, v0, v200 :: v_dual_and_b32 v131, 0xff, v3
	s_delay_alu instid0(VALU_DEP_3)
	v_cndmask_b32_e64 v1, v1, 0, vcc_lo
	global_wb scope:SCOPE_SE
	s_wait_storecnt_dscnt 0x0
	v_sub_nc_u16 v102, v49, v4
	v_and_b32_e32 v4, 0xffff, v50
	s_barrier_signal -1
	v_lshlrev_b64_e32 v[1:2], 3, v[0:1]
	s_barrier_wait -1
	v_and_b32_e32 v5, 0xffff, v102
	v_lshlrev_b32_e32 v4, 3, v4
	global_inv scope:SCOPE_SE
	v_add_co_u32 v1, vcc_lo, s10, v1
	v_lshlrev_b32_e32 v5, 3, v5
	s_wait_alu 0xfffd
	v_add_co_ci_u32_e32 v2, vcc_lo, s11, v2, vcc_lo
	s_clause 0x2
	global_load_b64 v[9:10], v4, s[10:11] offset:880
	global_load_b64 v[5:6], v5, s[10:11] offset:880
	global_load_b64 v[7:8], v[1:2], off offset:880
	v_lshlrev_b32_e32 v1, 3, v131
	ds_load_2addr_stride64_b64 v[69:72], v149 offset0:32 offset1:34
	v_cmp_lt_u32_e32 vcc_lo, 0x77, v200
	global_load_b64 v[11:12], v1, s[10:11] offset:880
	s_wait_alu 0xfffd
	v_cndmask_b32_e64 v155, 0, 0xf0, vcc_lo
	s_delay_alu instid0(VALU_DEP_1)
	v_add_lshl_u32 v0, v0, v155, 3
	s_wait_loadcnt_dscnt 0x0
	v_mul_f32_e32 v1, v70, v12
	v_mul_f32_e32 v4, v69, v12
	scratch_store_b64 off, v[11:12], off offset:508 ; 8-byte Folded Spill
	v_fma_f32 v3, v69, v11, -v1
	v_fmac_f32_e32 v4, v70, v11
	v_dual_mov_b32 v12, v10 :: v_dual_mov_b32 v11, v9
	s_delay_alu instid0(VALU_DEP_1)
	v_mul_f32_e32 v1, v72, v12
	v_mul_f32_e32 v10, v71, v12
	scratch_store_b64 off, v[11:12], off offset:500 ; 8-byte Folded Spill
	v_fma_f32 v9, v71, v11, -v1
	v_fmac_f32_e32 v10, v72, v11
	ds_load_2addr_stride64_b64 v[69:72], v149 offset0:36 offset1:38
	v_mul_lo_u16 v1, 0x78, v132
	s_delay_alu instid0(VALU_DEP_1) | instskip(NEXT) | instid1(VALU_DEP_1)
	v_sub_nc_u16 v133, v53, v1
	v_and_b32_e32 v1, 0xffff, v133
	s_wait_dscnt 0x0
	s_delay_alu instid0(VALU_DEP_1) | instskip(SKIP_4) | instid1(VALU_DEP_3)
	v_dual_mul_f32 v2, v70, v6 :: v_dual_lshlrev_b32 v1, 3, v1
	global_load_b64 v[19:20], v1, s[10:11] offset:880
	v_mul_f32_e32 v12, v69, v6
	v_fma_f32 v11, v69, v5, -v2
	v_mul_lo_u16 v2, 0x78, v134
	v_fmac_f32_e32 v12, v70, v5
	s_delay_alu instid0(VALU_DEP_2) | instskip(SKIP_1) | instid1(VALU_DEP_1)
	v_sub_nc_u16 v135, v65, v2
	v_mul_lo_u16 v2, 0x78, v136
	v_sub_nc_u16 v137, v67, v2
	s_delay_alu instid0(VALU_DEP_3) | instskip(NEXT) | instid1(VALU_DEP_1)
	v_and_b32_e32 v2, 0xffff, v135
	v_lshlrev_b32_e32 v2, 3, v2
	global_load_b64 v[15:16], v2, s[10:11] offset:880
	scratch_store_b64 off, v[5:6], off offset:516 ; 8-byte Folded Spill
	v_mul_lo_u16 v5, 0x78, v138
	v_mul_lo_u16 v2, 0x78, v142
	s_delay_alu instid0(VALU_DEP_2) | instskip(SKIP_1) | instid1(VALU_DEP_3)
	v_sub_nc_u16 v139, v41, v5
	v_and_b32_e32 v5, 0xffff, v137
	v_sub_nc_u16 v143, v47, v2
	v_mul_lo_u16 v2, 0x78, v144
	s_delay_alu instid0(VALU_DEP_4) | instskip(NEXT) | instid1(VALU_DEP_4)
	v_and_b32_e32 v6, 0xffff, v139
	v_lshlrev_b32_e32 v5, 3, v5
	s_delay_alu instid0(VALU_DEP_3) | instskip(SKIP_1) | instid1(VALU_DEP_4)
	v_sub_nc_u16 v145, v48, v2
	v_and_b32_e32 v2, 0xffff, v143
	v_lshlrev_b32_e32 v6, 3, v6
	s_delay_alu instid0(VALU_DEP_2) | instskip(SKIP_4) | instid1(VALU_DEP_2)
	v_lshlrev_b32_e32 v2, 3, v2
	s_wait_loadcnt 0x1
	scratch_store_b64 off, v[19:20], off offset:540 ; 8-byte Folded Spill
	v_mul_f32_e32 v1, v72, v20
	v_mul_f32_e32 v18, v71, v20
	v_fma_f32 v17, v71, v19, -v1
	s_delay_alu instid0(VALU_DEP_2)
	v_fmac_f32_e32 v18, v72, v19
	s_wait_loadcnt 0x0
	scratch_store_b64 off, v[15:16], off offset:532 ; 8-byte Folded Spill
	s_clause 0x1
	global_load_b64 v[13:14], v5, s[10:11] offset:880
	global_load_b64 v[5:6], v6, s[10:11] offset:880
	ds_load_2addr_stride64_b64 v[69:72], v149 offset0:40 offset1:42
	s_wait_dscnt 0x0
	v_mul_f32_e32 v1, v70, v16
	v_mul_f32_e32 v20, v69, v16
	s_delay_alu instid0(VALU_DEP_2) | instskip(NEXT) | instid1(VALU_DEP_2)
	v_fma_f32 v19, v69, v15, -v1
	v_fmac_f32_e32 v20, v70, v15
	global_load_b64 v[15:16], v2, s[10:11] offset:880
	v_mul_lo_u16 v2, 0x78, v151
	s_delay_alu instid0(VALU_DEP_1) | instskip(SKIP_1) | instid1(VALU_DEP_1)
	v_sub_nc_u16 v152, v58, v2
	v_mul_lo_u16 v2, 0x78, v153
	v_sub_nc_u16 v154, v60, v2
	s_delay_alu instid0(VALU_DEP_3) | instskip(NEXT) | instid1(VALU_DEP_1)
	v_and_b32_e32 v2, 0xffff, v152
	v_lshlrev_b32_e32 v2, 3, v2
	s_wait_loadcnt 0x2
	v_mul_f32_e32 v1, v72, v14
	v_mul_f32_e32 v26, v71, v14
	s_wait_loadcnt 0x1
	s_clause 0x1
	scratch_store_b64 off, v[5:6], off offset:548
	scratch_store_b64 off, v[13:14], off offset:524
	v_fma_f32 v25, v71, v13, -v1
	v_fmac_f32_e32 v26, v72, v13
	ds_load_2addr_stride64_b64 v[69:72], v149 offset0:44 offset1:46
	v_mul_lo_u16 v1, 0x78, v140
	s_delay_alu instid0(VALU_DEP_1)
	v_sub_nc_u16 v141, v44, v1
	s_wait_dscnt 0x0
	v_mul_f32_e32 v1, v70, v6
	v_mul_f32_e32 v28, v69, v6
	s_wait_loadcnt 0x0
	scratch_store_b64 off, v[15:16], off offset:588 ; 8-byte Folded Spill
	v_fma_f32 v27, v69, v5, -v1
	v_and_b32_e32 v1, 0xffff, v141
	v_fmac_f32_e32 v28, v70, v5
	v_mul_lo_u16 v5, 0x78, v146
	s_delay_alu instid0(VALU_DEP_3) | instskip(NEXT) | instid1(VALU_DEP_2)
	v_lshlrev_b32_e32 v1, 3, v1
	v_sub_nc_u16 v147, v57, v5
	v_and_b32_e32 v5, 0xffff, v145
	global_load_b64 v[21:22], v1, s[10:11] offset:880
	v_and_b32_e32 v6, 0xffff, v147
	v_lshlrev_b32_e32 v5, 3, v5
	s_delay_alu instid0(VALU_DEP_2)
	v_lshlrev_b32_e32 v6, 3, v6
	s_wait_loadcnt 0x0
	scratch_store_b64 off, v[21:22], off offset:596 ; 8-byte Folded Spill
	s_clause 0x1
	global_load_b64 v[13:14], v5, s[10:11] offset:880
	global_load_b64 v[5:6], v6, s[10:11] offset:880
	v_mul_f32_e32 v1, v72, v22
	v_mul_f32_e32 v78, v71, v22
	s_delay_alu instid0(VALU_DEP_2) | instskip(NEXT) | instid1(VALU_DEP_2)
	v_fma_f32 v77, v71, v21, -v1
	v_fmac_f32_e32 v78, v72, v21
	ds_load_2addr_stride64_b64 v[69:72], v149 offset0:48 offset1:50
	s_wait_dscnt 0x0
	v_mul_f32_e32 v1, v70, v16
	v_mul_f32_e32 v80, v69, v16
	s_delay_alu instid0(VALU_DEP_2) | instskip(SKIP_1) | instid1(VALU_DEP_2)
	v_fma_f32 v79, v69, v15, -v1
	s_wait_loadcnt 0x1
	v_dual_fmac_f32 v80, v70, v15 :: v_dual_mul_f32 v1, v72, v14
	v_mul_f32_e32 v86, v71, v14
	s_wait_loadcnt 0x0
	s_clause 0x1
	scratch_store_b64 off, v[5:6], off offset:604
	scratch_store_b64 off, v[13:14], off offset:580
	v_fma_f32 v85, v71, v13, -v1
	v_fmac_f32_e32 v86, v72, v13
	ds_load_2addr_stride64_b64 v[69:72], v149 offset0:52 offset1:54
	v_mul_lo_u16 v1, 0x78, v148
	s_delay_alu instid0(VALU_DEP_1) | instskip(SKIP_3) | instid1(VALU_DEP_2)
	v_sub_nc_u16 v150, v46, v1
	s_wait_dscnt 0x0
	v_mul_f32_e32 v1, v70, v6
	v_mul_f32_e32 v88, v69, v6
	v_fma_f32 v87, v69, v5, -v1
	s_delay_alu instid0(VALU_DEP_2) | instskip(SKIP_1) | instid1(VALU_DEP_2)
	v_dual_fmac_f32 v88, v70, v5 :: v_dual_and_b32 v1, 0xffff, v150
	v_and_b32_e32 v5, 0xffff, v154
	v_lshlrev_b32_e32 v1, 3, v1
	s_delay_alu instid0(VALU_DEP_2)
	v_lshlrev_b32_e32 v5, 3, v5
	s_clause 0x2
	global_load_b64 v[206:207], v1, s[10:11] offset:880
	global_load_b64 v[204:205], v2, s[10:11] offset:880
	;; [unrolled: 1-line block ×3, first 2 shown]
	s_clause 0x1
	scratch_store_b64 off, v[7:8], off offset:612
	scratch_store_b32 off, v0, off offset:644
	s_wait_loadcnt 0x2
	v_mul_f32_e32 v1, v72, v207
	v_mul_f32_e32 v94, v71, v207
	s_delay_alu instid0(VALU_DEP_2) | instskip(NEXT) | instid1(VALU_DEP_2)
	v_fma_f32 v93, v71, v206, -v1
	v_fmac_f32_e32 v94, v72, v206
	ds_load_2addr_stride64_b64 v[69:72], v149 offset0:56 offset1:58
	s_wait_loadcnt_dscnt 0x100
	v_mul_f32_e32 v1, v70, v205
	v_mul_f32_e32 v96, v69, v205
	s_wait_loadcnt 0x0
	v_mul_f32_e32 v98, v71, v203
	s_delay_alu instid0(VALU_DEP_3) | instskip(NEXT) | instid1(VALU_DEP_3)
	v_fma_f32 v95, v69, v204, -v1
	v_dual_mul_f32 v1, v72, v203 :: v_dual_fmac_f32 v96, v70, v204
	s_delay_alu instid0(VALU_DEP_3) | instskip(NEXT) | instid1(VALU_DEP_2)
	v_fmac_f32_e32 v98, v72, v202
	v_fma_f32 v97, v71, v202, -v1
	ds_load_2addr_stride64_b64 v[69:72], v149 offset0:28 offset1:30
	s_wait_dscnt 0x0
	v_mul_f32_e32 v1, v72, v8
	v_dual_mul_f32 v2, v71, v8 :: v_dual_sub_f32 v97, v69, v97
	v_sub_f32_e32 v98, v70, v98
	s_delay_alu instid0(VALU_DEP_3) | instskip(NEXT) | instid1(VALU_DEP_3)
	v_fma_f32 v1, v71, v7, -v1
	v_fmac_f32_e32 v2, v72, v7
	ds_load_2addr_stride64_b64 v[71:74], v149 offset1:2
	v_fma_f32 v69, v69, 2.0, -v97
	v_fma_f32 v70, v70, 2.0, -v98
	s_wait_dscnt 0x0
	v_dual_sub_f32 v1, v71, v1 :: v_dual_sub_f32 v2, v72, v2
	v_dual_sub_f32 v3, v73, v3 :: v_dual_sub_f32 v4, v74, v4
	s_delay_alu instid0(VALU_DEP_2) | instskip(NEXT) | instid1(VALU_DEP_3)
	v_fma_f32 v5, v71, 2.0, -v1
	v_fma_f32 v6, v72, 2.0, -v2
	s_delay_alu instid0(VALU_DEP_3) | instskip(NEXT) | instid1(VALU_DEP_4)
	v_fma_f32 v7, v73, 2.0, -v3
	v_fma_f32 v8, v74, 2.0, -v4
	ds_load_2addr_stride64_b64 v[71:74], v149 offset0:4 offset1:6
	s_wait_dscnt 0x0
	v_dual_sub_f32 v9, v71, v9 :: v_dual_sub_f32 v10, v72, v10
	v_dual_sub_f32 v11, v73, v11 :: v_dual_sub_f32 v12, v74, v12
	s_delay_alu instid0(VALU_DEP_2) | instskip(NEXT) | instid1(VALU_DEP_3)
	v_fma_f32 v13, v71, 2.0, -v9
	v_fma_f32 v14, v72, 2.0, -v10
	s_delay_alu instid0(VALU_DEP_3) | instskip(NEXT) | instid1(VALU_DEP_4)
	v_fma_f32 v15, v73, 2.0, -v11
	v_fma_f32 v16, v74, 2.0, -v12
	ds_load_2addr_stride64_b64 v[71:74], v149 offset0:8 offset1:10
	;; [unrolled: 10-line block ×6, first 2 shown]
	global_wb scope:SCOPE_SE
	s_wait_storecnt_dscnt 0x0
	s_barrier_signal -1
	s_barrier_wait -1
	global_inv scope:SCOPE_SE
	ds_store_2addr_b64 v0, v[5:6], v[1:2] offset1:120
	v_and_b32_e32 v0, 0xffff, v99
	s_delay_alu instid0(VALU_DEP_1) | instskip(NEXT) | instid1(VALU_DEP_1)
	v_mul_u32_u24_e32 v0, 0xf0, v0
	v_add_lshl_u32 v0, v0, v131, 3
	v_sub_f32_e32 v93, v71, v93
	scratch_store_b32 off, v0, off offset:640 ; 4-byte Folded Spill
	ds_store_2addr_b64 v0, v[7:8], v[3:4] offset1:120
	v_mad_u16 v0, 0xf0, v52, v50
	v_sub_f32_e32 v94, v72, v94
	v_fma_f32 v71, v71, 2.0, -v93
	v_dual_sub_f32 v95, v73, v95 :: v_dual_sub_f32 v96, v74, v96
	s_delay_alu instid0(VALU_DEP_4) | instskip(NEXT) | instid1(VALU_DEP_4)
	v_and_b32_e32 v0, 0xffff, v0
	v_fma_f32 v72, v72, 2.0, -v94
	v_mov_b32_e32 v50, 0
	s_delay_alu instid0(VALU_DEP_4) | instskip(SKIP_2) | instid1(VALU_DEP_4)
	v_fma_f32 v73, v73, 2.0, -v95
	v_fma_f32 v74, v74, 2.0, -v96
	v_lshlrev_b32_e32 v0, 3, v0
	v_mov_b32_e32 v52, v50
	scratch_store_b32 off, v0, off offset:636 ; 4-byte Folded Spill
	ds_store_2addr_b64 v0, v[13:14], v[9:10] offset1:120
	v_mad_u16 v0, 0xf0, v101, v102
	v_cmp_gt_u64_e32 vcc_lo, 0xf0, v[51:52]
	v_lshrrev_b32_e32 v101, 19, v55
	s_delay_alu instid0(VALU_DEP_3) | instskip(NEXT) | instid1(VALU_DEP_1)
	v_and_b32_e32 v0, 0xffff, v0
	v_lshlrev_b32_e32 v0, 3, v0
	scratch_store_b32 off, v0, off offset:632 ; 4-byte Folded Spill
	ds_store_2addr_b64 v0, v[15:16], v[11:12] offset1:120
	v_mad_u16 v0, 0xf0, v132, v133
	v_lshrrev_b32_e32 v132, 19, v59
	s_delay_alu instid0(VALU_DEP_2) | instskip(NEXT) | instid1(VALU_DEP_1)
	v_and_b32_e32 v0, 0xffff, v0
	v_lshlrev_b32_e32 v0, 3, v0
	scratch_store_b32 off, v0, off offset:628 ; 4-byte Folded Spill
	ds_store_2addr_b64 v0, v[21:22], v[17:18] offset1:120
	v_mad_u16 v0, 0xf0, v134, v135
	v_lshrrev_b32_e32 v135, 19, v61
	s_delay_alu instid0(VALU_DEP_2) | instskip(NEXT) | instid1(VALU_DEP_1)
	v_and_b32_e32 v0, 0xffff, v0
	v_lshlrev_b32_e32 v0, 3, v0
	scratch_store_b32 off, v0, off offset:624 ; 4-byte Folded Spill
	ds_store_2addr_b64 v0, v[23:24], v[19:20] offset1:120
	v_mad_u16 v0, 0xf0, v136, v137
	s_delay_alu instid0(VALU_DEP_1) | instskip(NEXT) | instid1(VALU_DEP_1)
	v_and_b32_e32 v0, 0xffff, v0
	v_lshlrev_b32_e32 v0, 3, v0
	scratch_store_b32 off, v0, off offset:620 ; 4-byte Folded Spill
	ds_store_2addr_b64 v0, v[42:43], v[25:26] offset1:120
	v_mad_u16 v0, 0xf0, v138, v139
	s_delay_alu instid0(VALU_DEP_1) | instskip(NEXT) | instid1(VALU_DEP_1)
	v_and_b32_e32 v0, 0xffff, v0
	v_lshlrev_b32_e32 v0, 3, v0
	scratch_store_b32 off, v0, off offset:576 ; 4-byte Folded Spill
	ds_store_2addr_b64 v0, v[75:76], v[27:28] offset1:120
	v_mad_u16 v0, 0xf0, v140, v141
	v_lshrrev_b32_e32 v28, 17, v100
	s_delay_alu instid0(VALU_DEP_2) | instskip(NEXT) | instid1(VALU_DEP_2)
	v_and_b32_e32 v0, 0xffff, v0
	v_mul_lo_u16 v2, 0xf0, v28
	s_delay_alu instid0(VALU_DEP_2) | instskip(SKIP_3) | instid1(VALU_DEP_1)
	v_lshlrev_b32_e32 v0, 3, v0
	scratch_store_b32 off, v0, off offset:572 ; 4-byte Folded Spill
	ds_store_2addr_b64 v0, v[81:82], v[77:78] offset1:120
	v_mad_u16 v0, 0xf0, v142, v143
	v_and_b32_e32 v0, 0xffff, v0
	s_delay_alu instid0(VALU_DEP_1) | instskip(SKIP_3) | instid1(VALU_DEP_1)
	v_lshlrev_b32_e32 v0, 3, v0
	scratch_store_b32 off, v0, off offset:568 ; 4-byte Folded Spill
	ds_store_2addr_b64 v0, v[83:84], v[79:80] offset1:120
	v_mad_u16 v0, 0xf0, v144, v145
	v_and_b32_e32 v0, 0xffff, v0
	s_delay_alu instid0(VALU_DEP_1) | instskip(SKIP_3) | instid1(VALU_DEP_1)
	;; [unrolled: 6-line block ×5, first 2 shown]
	v_lshlrev_b32_e32 v0, 3, v0
	scratch_store_b32 off, v0, off offset:652 ; 4-byte Folded Spill
	ds_store_2addr_b64 v0, v[73:74], v[95:96] offset1:120
	v_mad_u16 v0, 0xf0, v153, v154
	v_and_b32_e32 v0, 0xffff, v0
	s_delay_alu instid0(VALU_DEP_1)
	v_lshlrev_b32_e32 v0, 3, v0
	scratch_store_b32 off, v0, off offset:648 ; 4-byte Folded Spill
	ds_store_2addr_b64 v0, v[69:70], v[97:98] offset1:120
	v_add_co_u32 v0, s2, 0xffffff90, v200
	s_wait_alu 0xf1ff
	v_add_co_ci_u32_e64 v1, null, 0, -1, s2
	global_wb scope:SCOPE_SE
	s_wait_storecnt_dscnt 0x0
	s_wait_alu 0xfffd
	v_cndmask_b32_e32 v42, v0, v51, vcc_lo
	s_barrier_signal -1
	v_cndmask_b32_e64 v43, v1, 0, vcc_lo
	s_barrier_wait -1
	global_inv scope:SCOPE_SE
	v_lshrrev_b32_e32 v97, 18, v63
	v_lshlrev_b64_e32 v[0:1], 3, v[42:43]
	v_sub_nc_u16 v43, v49, v2
	s_delay_alu instid0(VALU_DEP_2) | instskip(SKIP_1) | instid1(VALU_DEP_3)
	v_add_co_u32 v0, vcc_lo, s10, v0
	s_wait_alu 0xfffd
	v_add_co_ci_u32_e32 v1, vcc_lo, s11, v1, vcc_lo
	v_cmp_lt_u64_e32 vcc_lo, 0xef, v[51:52]
	global_load_b64 v[208:209], v[0:1], off offset:1840
	v_and_b32_e32 v0, 0xffff, v43
	v_lshrrev_b32_e32 v1, 18, v68
	s_delay_alu instid0(VALU_DEP_2)
	v_lshlrev_b32_e32 v0, 3, v0
	s_clause 0x1
	global_load_b64 v[210:211], v0, s[10:11] offset:1840
	global_load_b64 v[212:213], v149, s[10:11] offset:1968
	ds_load_2addr_stride64_b64 v[69:72], v149 offset0:32 offset1:34
	v_mul_lo_u16 v1, 0xf0, v1
	global_load_b64 v[214:215], v149, s[10:11] offset:1840
	v_sub_nc_u16 v1, v67, v1
	s_delay_alu instid0(VALU_DEP_1) | instskip(NEXT) | instid1(VALU_DEP_1)
	v_and_b32_e32 v1, 0xffff, v1
	v_lshlrev_b32_e32 v100, 3, v1
	s_wait_loadcnt_dscnt 0x300
	v_mul_f32_e32 v0, v70, v209
	v_mul_f32_e32 v3, v69, v209
	s_delay_alu instid0(VALU_DEP_2) | instskip(SKIP_1) | instid1(VALU_DEP_2)
	v_fma_f32 v2, v69, v208, -v0
	s_wait_loadcnt 0x1
	v_dual_fmac_f32 v3, v70, v208 :: v_dual_mul_f32 v0, v72, v213
	v_mul_f32_e32 v9, v71, v213
	s_delay_alu instid0(VALU_DEP_2) | instskip(SKIP_1) | instid1(VALU_DEP_3)
	v_fma_f32 v8, v71, v212, -v0
	v_lshrrev_b32_e32 v0, 18, v64
	v_fmac_f32_e32 v9, v72, v212
	s_delay_alu instid0(VALU_DEP_2) | instskip(NEXT) | instid1(VALU_DEP_1)
	v_mul_lo_u16 v0, 0xf0, v0
	v_sub_nc_u16 v0, v53, v0
	v_lshrrev_b32_e32 v53, 18, v66
	s_delay_alu instid0(VALU_DEP_2) | instskip(NEXT) | instid1(VALU_DEP_2)
	v_and_b32_e32 v0, 0xffff, v0
	v_mul_lo_u16 v4, 0xf0, v53
	s_delay_alu instid0(VALU_DEP_2) | instskip(NEXT) | instid1(VALU_DEP_2)
	v_lshlrev_b32_e32 v99, 3, v0
	v_sub_nc_u16 v96, v65, v4
	v_mul_lo_u16 v4, 0xf0, v97
	ds_load_2addr_stride64_b64 v[64:67], v149 offset0:36 offset1:38
	v_and_b32_e32 v0, 0xffff, v96
	v_sub_nc_u16 v98, v41, v4
	s_delay_alu instid0(VALU_DEP_2) | instskip(NEXT) | instid1(VALU_DEP_2)
	v_lshlrev_b32_e32 v0, 3, v0
	v_and_b32_e32 v1, 0xffff, v98
	s_delay_alu instid0(VALU_DEP_1)
	v_lshlrev_b32_e32 v1, 3, v1
	s_clause 0x3
	global_load_b64 v[216:217], v1, s[10:11] offset:1840
	global_load_b64 v[224:225], v0, s[10:11] offset:1840
	;; [unrolled: 1-line block ×4, first 2 shown]
	s_wait_dscnt 0x0
	v_mul_f32_e32 v4, v65, v211
	v_mul_f32_e32 v11, v64, v211
	v_lshrrev_b32_e32 v1, 19, v56
	s_delay_alu instid0(VALU_DEP_3) | instskip(NEXT) | instid1(VALU_DEP_3)
	v_fma_f32 v10, v64, v210, -v4
	v_fmac_f32_e32 v11, v65, v210
	v_mul_lo_u16 v4, 0xf0, v101
	s_delay_alu instid0(VALU_DEP_4) | instskip(NEXT) | instid1(VALU_DEP_2)
	v_mul_lo_u16 v1, 0xf0, v1
	v_sub_nc_u16 v102, v47, v4
	s_delay_alu instid0(VALU_DEP_2) | instskip(NEXT) | instid1(VALU_DEP_1)
	v_sub_nc_u16 v1, v48, v1
	v_and_b32_e32 v1, 0xffff, v1
	s_delay_alu instid0(VALU_DEP_1) | instskip(SKIP_1) | instid1(VALU_DEP_1)
	v_lshlrev_b32_e32 v134, 3, v1
	v_lshrrev_b32_e32 v1, 19, v62
	v_mul_lo_u16 v1, 0xf0, v1
	s_delay_alu instid0(VALU_DEP_1) | instskip(SKIP_3) | instid1(VALU_DEP_2)
	v_sub_nc_u16 v1, v60, v1
	s_wait_loadcnt 0x1
	v_mul_f32_e32 v0, v67, v233
	v_mul_f32_e32 v17, v66, v233
	v_fma_f32 v16, v66, v232, -v0
	s_delay_alu instid0(VALU_DEP_2)
	v_fmac_f32_e32 v17, v67, v232
	ds_load_2addr_stride64_b64 v[64:67], v149 offset0:40 offset1:42
	s_wait_dscnt 0x0
	v_mul_f32_e32 v0, v65, v225
	v_mul_f32_e32 v19, v64, v225
	s_wait_loadcnt 0x0
	v_mul_f32_e32 v25, v66, v221
	s_delay_alu instid0(VALU_DEP_3) | instskip(NEXT) | instid1(VALU_DEP_3)
	v_fma_f32 v18, v64, v224, -v0
	v_dual_mul_f32 v0, v67, v221 :: v_dual_fmac_f32 v19, v65, v224
	s_delay_alu instid0(VALU_DEP_3) | instskip(NEXT) | instid1(VALU_DEP_2)
	v_fmac_f32_e32 v25, v67, v220
	v_fma_f32 v24, v66, v220, -v0
	v_lshrrev_b32_e32 v0, 19, v45
	ds_load_2addr_stride64_b64 v[64:67], v149 offset0:44 offset1:46
	v_mul_lo_u16 v0, 0xf0, v0
	s_delay_alu instid0(VALU_DEP_1) | instskip(NEXT) | instid1(VALU_DEP_1)
	v_sub_nc_u16 v0, v44, v0
	v_and_b32_e32 v0, 0xffff, v0
	s_wait_dscnt 0x0
	s_delay_alu instid0(VALU_DEP_1) | instskip(SKIP_1) | instid1(VALU_DEP_2)
	v_dual_mul_f32 v0, v65, v217 :: v_dual_lshlrev_b32 v131, 3, v0
	v_mul_f32_e32 v27, v64, v217
	v_fma_f32 v26, v64, v216, -v0
	v_mul_lo_u16 v0, 0xf0, v132
	s_delay_alu instid0(VALU_DEP_3) | instskip(NEXT) | instid1(VALU_DEP_2)
	v_fmac_f32_e32 v27, v65, v216
	v_sub_nc_u16 v133, v57, v0
	v_and_b32_e32 v0, 0xffff, v102
	s_delay_alu instid0(VALU_DEP_2) | instskip(NEXT) | instid1(VALU_DEP_2)
	v_and_b32_e32 v4, 0xffff, v133
	v_lshlrev_b32_e32 v0, 3, v0
	s_delay_alu instid0(VALU_DEP_2)
	v_lshlrev_b32_e32 v4, 3, v4
	s_clause 0x3
	global_load_b64 v[218:219], v4, s[10:11] offset:1840
	global_load_b64 v[230:231], v0, s[10:11] offset:1840
	;; [unrolled: 1-line block ×4, first 2 shown]
	v_mul_lo_u16 v4, 0xf0, v135
	s_delay_alu instid0(VALU_DEP_1) | instskip(SKIP_3) | instid1(VALU_DEP_2)
	v_sub_nc_u16 v136, v58, v4
	s_wait_loadcnt 0x1
	v_mul_f32_e32 v0, v67, v237
	v_mul_f32_e32 v75, v66, v237
	v_fma_f32 v74, v66, v236, -v0
	s_delay_alu instid0(VALU_DEP_2)
	v_fmac_f32_e32 v75, v67, v236
	ds_load_2addr_stride64_b64 v[64:67], v149 offset0:48 offset1:50
	s_wait_dscnt 0x0
	v_mul_f32_e32 v0, v65, v231
	v_mul_f32_e32 v77, v64, v231
	s_wait_loadcnt 0x0
	v_mul_f32_e32 v83, v66, v229
	s_delay_alu instid0(VALU_DEP_3) | instskip(NEXT) | instid1(VALU_DEP_3)
	v_fma_f32 v76, v64, v230, -v0
	v_dual_mul_f32 v0, v67, v229 :: v_dual_fmac_f32 v77, v65, v230
	s_delay_alu instid0(VALU_DEP_3) | instskip(NEXT) | instid1(VALU_DEP_2)
	v_fmac_f32_e32 v83, v67, v228
	v_fma_f32 v82, v66, v228, -v0
	v_lshrrev_b32_e32 v0, 19, v54
	ds_load_2addr_stride64_b64 v[64:67], v149 offset0:52 offset1:54
	v_mul_lo_u16 v0, 0xf0, v0
	s_delay_alu instid0(VALU_DEP_1) | instskip(NEXT) | instid1(VALU_DEP_1)
	v_sub_nc_u16 v0, v46, v0
	v_and_b32_e32 v0, 0xffff, v0
	s_delay_alu instid0(VALU_DEP_1) | instskip(SKIP_3) | instid1(VALU_DEP_2)
	v_lshlrev_b32_e32 v137, 3, v0
	v_and_b32_e32 v0, 0xffff, v1
	s_wait_dscnt 0x0
	v_dual_mul_f32 v4, v65, v219 :: v_dual_and_b32 v1, 0xffff, v136
	v_dual_mul_f32 v85, v64, v219 :: v_dual_lshlrev_b32 v138, 3, v0
	s_delay_alu instid0(VALU_DEP_2)
	v_lshlrev_b32_e32 v1, 3, v1
	s_clause 0x2
	global_load_b64 v[226:227], v1, s[10:11] offset:1840
	global_load_b64 v[234:235], v137, s[10:11] offset:1840
	;; [unrolled: 1-line block ×3, first 2 shown]
	v_fma_f32 v84, v64, v218, -v4
	s_wait_loadcnt 0x1
	v_dual_fmac_f32 v85, v65, v218 :: v_dual_mul_f32 v0, v67, v235
	v_mul_f32_e32 v91, v66, v235
	s_delay_alu instid0(VALU_DEP_2) | instskip(NEXT) | instid1(VALU_DEP_2)
	v_fma_f32 v90, v66, v234, -v0
	v_fmac_f32_e32 v91, v67, v234
	ds_load_2addr_stride64_b64 v[64:67], v149 offset0:56 offset1:58
	s_wait_dscnt 0x0
	v_mul_f32_e32 v0, v65, v227
	v_mul_f32_e32 v93, v64, v227
	s_wait_loadcnt 0x0
	v_mul_f32_e32 v95, v66, v223
	s_delay_alu instid0(VALU_DEP_3) | instskip(NEXT) | instid1(VALU_DEP_3)
	v_fma_f32 v92, v64, v226, -v0
	v_dual_mul_f32 v0, v67, v223 :: v_dual_fmac_f32 v93, v65, v226
	s_delay_alu instid0(VALU_DEP_3) | instskip(NEXT) | instid1(VALU_DEP_2)
	v_fmac_f32_e32 v95, v67, v222
	v_fma_f32 v94, v66, v222, -v0
	ds_load_2addr_stride64_b64 v[64:67], v149 offset0:28 offset1:30
	s_wait_dscnt 0x0
	v_mul_f32_e32 v0, v67, v215
	v_dual_mul_f32 v1, v66, v215 :: v_dual_sub_f32 v94, v64, v94
	v_sub_f32_e32 v95, v65, v95
	s_delay_alu instid0(VALU_DEP_3) | instskip(NEXT) | instid1(VALU_DEP_3)
	v_fma_f32 v0, v66, v214, -v0
	v_fmac_f32_e32 v1, v67, v214
	ds_load_2addr_stride64_b64 v[66:69], v149 offset1:2
	v_fma_f32 v64, v64, 2.0, -v94
	v_fma_f32 v65, v65, 2.0, -v95
	s_wait_dscnt 0x0
	v_dual_sub_f32 v0, v66, v0 :: v_dual_sub_f32 v1, v67, v1
	v_dual_sub_f32 v2, v68, v2 :: v_dual_sub_f32 v3, v69, v3
	s_delay_alu instid0(VALU_DEP_2) | instskip(NEXT) | instid1(VALU_DEP_3)
	v_fma_f32 v4, v66, 2.0, -v0
	v_fma_f32 v5, v67, 2.0, -v1
	s_delay_alu instid0(VALU_DEP_3) | instskip(NEXT) | instid1(VALU_DEP_4)
	v_fma_f32 v6, v68, 2.0, -v2
	v_fma_f32 v7, v69, 2.0, -v3
	ds_load_2addr_stride64_b64 v[66:69], v149 offset0:4 offset1:6
	s_wait_dscnt 0x0
	v_dual_sub_f32 v8, v66, v8 :: v_dual_sub_f32 v9, v67, v9
	v_dual_sub_f32 v10, v68, v10 :: v_dual_sub_f32 v11, v69, v11
	s_delay_alu instid0(VALU_DEP_2) | instskip(NEXT) | instid1(VALU_DEP_3)
	v_fma_f32 v12, v66, 2.0, -v8
	v_fma_f32 v13, v67, 2.0, -v9
	s_delay_alu instid0(VALU_DEP_3) | instskip(NEXT) | instid1(VALU_DEP_4)
	v_fma_f32 v14, v68, 2.0, -v10
	v_fma_f32 v15, v69, 2.0, -v11
	ds_load_2addr_stride64_b64 v[66:69], v149 offset0:8 offset1:10
	;; [unrolled: 10-line block ×6, first 2 shown]
	global_wb scope:SCOPE_SE
	s_wait_dscnt 0x0
	s_barrier_signal -1
	s_barrier_wait -1
	global_inv scope:SCOPE_SE
	ds_store_2addr_b64 v149, v[4:5], v[0:1] offset1:240
	s_wait_alu 0xfffd
	v_cndmask_b32_e64 v0, 0, 0x1e0, vcc_lo
	v_cmp_gt_u64_e32 vcc_lo, 0x1e0, v[49:50]
	v_lshrrev_b32_e32 v5, 20, v56
	s_delay_alu instid0(VALU_DEP_3) | instskip(NEXT) | instid1(VALU_DEP_2)
	v_add_lshl_u32 v0, v0, v42, 3
	v_mul_lo_u16 v5, 0x1e0, v5
	scratch_store_b32 off, v0, off offset:704 ; 4-byte Folded Spill
	ds_store_2addr_b64 v0, v[6:7], v[2:3] offset1:240
	v_add_nc_u32_e32 v0, 0xf80, v149
	v_sub_nc_u16 v5, v48, v5
	v_dual_sub_f32 v90, v66, v90 :: v_dual_sub_f32 v91, v67, v91
	v_sub_f32_e32 v92, v68, v92
	ds_store_2addr_b64 v0, v[12:13], v[8:9] offset1:240
	v_mad_u16 v0, 0x1e0, v28, v43
	v_fma_f32 v66, v66, 2.0, -v90
	v_fma_f32 v67, v67, 2.0, -v91
	v_sub_f32_e32 v93, v69, v93
	v_fma_f32 v68, v68, 2.0, -v92
	v_and_b32_e32 v0, 0xffff, v0
	v_lshrrev_b32_e32 v48, 20, v59
	v_and_b32_e32 v5, 0xffff, v5
	v_fma_f32 v69, v69, 2.0, -v93
	s_delay_alu instid0(VALU_DEP_4) | instskip(NEXT) | instid1(VALU_DEP_4)
	v_lshlrev_b32_e32 v0, 3, v0
	v_mul_lo_u16 v6, 0x1e0, v48
	scratch_store_b32 off, v0, off offset:700 ; 4-byte Folded Spill
	ds_store_2addr_b64 v0, v[14:15], v[10:11] offset1:240
	v_add_nc_u32_e32 v0, 0x1e00, v99
	scratch_store_b32 off, v0, off offset:696 ; 4-byte Folded Spill
	ds_store_2addr_b64 v0, v[20:21], v[16:17] offset1:240
	v_mad_u16 v0, 0x1e0, v53, v96
	s_delay_alu instid0(VALU_DEP_1) | instskip(NEXT) | instid1(VALU_DEP_1)
	v_and_b32_e32 v0, 0xffff, v0
	v_lshlrev_b32_e32 v0, 3, v0
	scratch_store_b32 off, v0, off offset:692 ; 4-byte Folded Spill
	ds_store_2addr_b64 v0, v[22:23], v[18:19] offset1:240
	v_add_nc_u32_e32 v0, 0x2d00, v100
	scratch_store_b32 off, v0, off offset:688 ; 4-byte Folded Spill
	ds_store_2addr_b64 v0, v[70:71], v[24:25] offset1:240
	v_mad_u16 v0, 0x1e0, v97, v98
	s_delay_alu instid0(VALU_DEP_1) | instskip(NEXT) | instid1(VALU_DEP_1)
	v_and_b32_e32 v0, 0xffff, v0
	v_lshlrev_b32_e32 v0, 3, v0
	scratch_store_b32 off, v0, off offset:684 ; 4-byte Folded Spill
	ds_store_2addr_b64 v0, v[72:73], v[26:27] offset1:240
	v_add_nc_u32_e32 v0, 0x3c00, v131
	scratch_store_b32 off, v0, off offset:680 ; 4-byte Folded Spill
	ds_store_2addr_b64 v0, v[78:79], v[74:75] offset1:240
	v_mad_u16 v0, 0x1e0, v101, v102
	v_sub_nc_u16 v79, v57, v6
	s_delay_alu instid0(VALU_DEP_2) | instskip(NEXT) | instid1(VALU_DEP_1)
	v_and_b32_e32 v0, 0xffff, v0
	v_lshlrev_b32_e32 v0, 3, v0
	scratch_store_b32 off, v0, off offset:676 ; 4-byte Folded Spill
	ds_store_2addr_b64 v0, v[80:81], v[76:77] offset1:240
	v_add_nc_u32_e32 v0, 0x4b00, v134
	v_lshrrev_b32_e32 v77, 19, v63
	v_lshlrev_b32_e32 v80, 3, v5
	v_lshrrev_b32_e32 v5, 20, v62
	scratch_store_b32 off, v0, off offset:672 ; 4-byte Folded Spill
	ds_store_2addr_b64 v0, v[86:87], v[82:83] offset1:240
	v_mad_u16 v0, 0x1e0, v132, v133
	v_mul_lo_u16 v5, 0x1e0, v5
	s_delay_alu instid0(VALU_DEP_2) | instskip(NEXT) | instid1(VALU_DEP_2)
	v_and_b32_e32 v0, 0xffff, v0
	v_sub_nc_u16 v5, v60, v5
	s_delay_alu instid0(VALU_DEP_2) | instskip(NEXT) | instid1(VALU_DEP_2)
	v_lshlrev_b32_e32 v0, 3, v0
	v_and_b32_e32 v5, 0xffff, v5
	scratch_store_b32 off, v0, off offset:668 ; 4-byte Folded Spill
	ds_store_2addr_b64 v0, v[88:89], v[84:85] offset1:240
	v_add_nc_u32_e32 v0, 0x5a00, v137
	v_lshlrev_b32_e32 v83, 3, v5
	scratch_store_b32 off, v0, off offset:664 ; 4-byte Folded Spill
	ds_store_2addr_b64 v0, v[66:67], v[90:91] offset1:240
	v_mad_u16 v0, 0x1e0, v135, v136
	s_delay_alu instid0(VALU_DEP_1) | instskip(NEXT) | instid1(VALU_DEP_1)
	v_and_b32_e32 v0, 0xffff, v0
	v_lshlrev_b32_e32 v0, 3, v0
	scratch_store_b32 off, v0, off offset:660 ; 4-byte Folded Spill
	ds_store_2addr_b64 v0, v[68:69], v[92:93] offset1:240
	v_add_nc_u32_e32 v0, 0x6900, v138
	scratch_store_b32 off, v0, off offset:656 ; 4-byte Folded Spill
	ds_store_2addr_b64 v0, v[64:65], v[94:95] offset1:240
	v_mul_lo_u16 v0, 0x1e0, v77
	global_wb scope:SCOPE_SE
	s_wait_storecnt_dscnt 0x0
	s_barrier_signal -1
	s_barrier_wait -1
	global_inv scope:SCOPE_SE
	v_sub_nc_u16 v78, v41, v0
	s_clause 0x2
	global_load_b64 v[248:249], v149, s[10:11] offset:4784
	global_load_b64 v[240:241], v149, s[10:11] offset:5040
	;; [unrolled: 1-line block ×3, first 2 shown]
	ds_load_2addr_stride64_b64 v[63:66], v149 offset0:32 offset1:34
	v_and_b32_e32 v0, 0xffff, v78
	s_delay_alu instid0(VALU_DEP_1)
	v_lshlrev_b32_e32 v0, 3, v0
	s_clause 0x3
	global_load_b64 v[238:239], v0, s[10:11] offset:3760
	global_load_b64 v[246:247], v149, s[10:11] offset:5808
	;; [unrolled: 1-line block ×4, first 2 shown]
	s_wait_loadcnt_dscnt 0x600
	v_mul_f32_e32 v1, v64, v249
	v_mul_f32_e32 v4, v63, v249
	s_delay_alu instid0(VALU_DEP_2) | instskip(NEXT) | instid1(VALU_DEP_2)
	v_fma_f32 v3, v63, v248, -v1
	v_fmac_f32_e32 v4, v64, v248
	s_wait_loadcnt 0x2
	v_mul_f32_e32 v0, v66, v247
	v_mul_f32_e32 v10, v65, v247
	s_delay_alu instid0(VALU_DEP_2)
	v_fma_f32 v9, v65, v246, -v0
	v_add_co_u32 v0, s2, 0xffffffa0, v200
	s_wait_alu 0xf1ff
	v_add_co_ci_u32_e64 v1, null, 0, -1, s2
	v_fmac_f32_e32 v10, v66, v246
	s_wait_alu 0xfffd
	v_cndmask_b32_e32 v0, v0, v49, vcc_lo
	ds_load_2addr_stride64_b64 v[63:66], v149 offset0:36 offset1:38
	v_cndmask_b32_e64 v1, v1, 0, vcc_lo
	s_delay_alu instid0(VALU_DEP_1) | instskip(NEXT) | instid1(VALU_DEP_1)
	v_lshlrev_b64_e32 v[1:2], 3, v[0:1]
	v_add_co_u32 v1, vcc_lo, s10, v1
	s_wait_alu 0xfffd
	s_delay_alu instid0(VALU_DEP_2) | instskip(SKIP_4) | instid1(VALU_DEP_2)
	v_add_co_ci_u32_e32 v2, vcc_lo, s11, v2, vcc_lo
	global_load_b64 v[250:251], v[1:2], off offset:3760
	s_wait_dscnt 0x0
	v_mul_f32_e32 v18, v65, v245
	v_lshrrev_b32_e32 v2, 20, v55
	v_fmac_f32_e32 v18, v66, v244
	s_delay_alu instid0(VALU_DEP_2) | instskip(NEXT) | instid1(VALU_DEP_1)
	v_mul_lo_u16 v2, 0x1e0, v2
	v_sub_nc_u16 v2, v47, v2
	s_delay_alu instid0(VALU_DEP_1) | instskip(NEXT) | instid1(VALU_DEP_1)
	v_and_b32_e32 v2, 0xffff, v2
	v_lshlrev_b32_e32 v81, 3, v2
	s_wait_loadcnt 0x0
	v_mul_f32_e32 v1, v64, v251
	v_mul_f32_e32 v12, v63, v251
	s_delay_alu instid0(VALU_DEP_2) | instskip(NEXT) | instid1(VALU_DEP_2)
	v_fma_f32 v11, v63, v250, -v1
	v_dual_mul_f32 v1, v66, v245 :: v_dual_fmac_f32 v12, v64, v250
	s_delay_alu instid0(VALU_DEP_1)
	v_fma_f32 v17, v65, v244, -v1
	ds_load_2addr_stride64_b64 v[63:66], v149 offset0:40 offset1:42
	s_wait_dscnt 0x0
	v_mul_f32_e32 v1, v64, v241
	v_mul_f32_e32 v20, v63, v241
	;; [unrolled: 1-line block ×3, first 2 shown]
	s_delay_alu instid0(VALU_DEP_3) | instskip(NEXT) | instid1(VALU_DEP_3)
	v_fma_f32 v19, v63, v240, -v1
	v_dual_mul_f32 v1, v66, v243 :: v_dual_fmac_f32 v20, v64, v240
	s_delay_alu instid0(VALU_DEP_3) | instskip(NEXT) | instid1(VALU_DEP_2)
	v_fmac_f32_e32 v26, v66, v242
	v_fma_f32 v25, v65, v242, -v1
	v_lshrrev_b32_e32 v1, 20, v45
	s_delay_alu instid0(VALU_DEP_1) | instskip(NEXT) | instid1(VALU_DEP_1)
	v_mul_lo_u16 v1, 0x1e0, v1
	v_sub_nc_u16 v1, v44, v1
	ds_load_2addr_stride64_b64 v[42:45], v149 offset0:44 offset1:46
	v_and_b32_e32 v1, 0xffff, v1
	s_delay_alu instid0(VALU_DEP_1) | instskip(SKIP_1) | instid1(VALU_DEP_1)
	v_lshlrev_b32_e32 v82, 3, v1
	v_and_b32_e32 v1, 0xffff, v79
	v_lshlrev_b32_e32 v1, 3, v1
	s_clause 0x3
	global_load_b64 v[184:185], v1, s[10:11] offset:3760
	global_load_b64 v[158:159], v82, s[10:11] offset:3760
	;; [unrolled: 1-line block ×4, first 2 shown]
	s_wait_dscnt 0x0
	v_mul_f32_e32 v2, v43, v239
	v_mul_f32_e32 v28, v42, v239
	s_delay_alu instid0(VALU_DEP_2) | instskip(NEXT) | instid1(VALU_DEP_2)
	v_fma_f32 v27, v42, v238, -v2
	v_fmac_f32_e32 v28, v43, v238
	v_lshrrev_b32_e32 v2, 20, v61
	s_delay_alu instid0(VALU_DEP_1) | instskip(NEXT) | instid1(VALU_DEP_1)
	v_mul_lo_u16 v2, 0x1e0, v2
	v_sub_nc_u16 v2, v58, v2
	s_delay_alu instid0(VALU_DEP_1) | instskip(SKIP_1) | instid1(VALU_DEP_1)
	v_and_b32_e32 v2, 0xffff, v2
	s_wait_loadcnt 0x2
	v_dual_mul_f32 v1, v45, v159 :: v_dual_lshlrev_b32 v84, 3, v2
	v_mul_f32_e32 v56, v44, v159
	s_delay_alu instid0(VALU_DEP_2) | instskip(NEXT) | instid1(VALU_DEP_2)
	v_fma_f32 v55, v44, v158, -v1
	v_fmac_f32_e32 v56, v45, v158
	ds_load_2addr_stride64_b64 v[42:45], v149 offset0:48 offset1:50
	s_wait_loadcnt_dscnt 0x100
	v_mul_f32_e32 v1, v43, v167
	v_mul_f32_e32 v59, v42, v167
	s_wait_loadcnt 0x0
	v_mul_f32_e32 v64, v44, v179
	s_delay_alu instid0(VALU_DEP_3) | instskip(SKIP_2) | instid1(VALU_DEP_4)
	v_fma_f32 v57, v42, v166, -v1
	v_mul_f32_e32 v1, v45, v179
	v_fmac_f32_e32 v59, v43, v166
	v_fmac_f32_e32 v64, v45, v178
	s_delay_alu instid0(VALU_DEP_3) | instskip(SKIP_3) | instid1(VALU_DEP_1)
	v_fma_f32 v63, v44, v178, -v1
	v_lshrrev_b32_e32 v1, 20, v54
	ds_load_2addr_stride64_b64 v[42:45], v149 offset0:52 offset1:54
	v_mul_lo_u16 v1, 0x1e0, v1
	v_sub_nc_u16 v1, v46, v1
	s_delay_alu instid0(VALU_DEP_1) | instskip(NEXT) | instid1(VALU_DEP_1)
	v_and_b32_e32 v1, 0xffff, v1
	v_lshlrev_b32_e32 v85, 3, v1
	s_clause 0x2
	global_load_b64 v[162:163], v85, s[10:11] offset:3760
	global_load_b64 v[170:171], v84, s[10:11] offset:3760
	;; [unrolled: 1-line block ×3, first 2 shown]
	s_wait_dscnt 0x0
	v_mul_f32_e32 v1, v43, v185
	v_mul_f32_e32 v66, v42, v185
	s_delay_alu instid0(VALU_DEP_2) | instskip(SKIP_1) | instid1(VALU_DEP_2)
	v_fma_f32 v65, v42, v184, -v1
	s_wait_loadcnt 0x2
	v_dual_fmac_f32 v66, v43, v184 :: v_dual_mul_f32 v1, v45, v163
	v_mul_f32_e32 v72, v44, v163
	s_delay_alu instid0(VALU_DEP_2) | instskip(NEXT) | instid1(VALU_DEP_2)
	v_fma_f32 v71, v44, v162, -v1
	v_fmac_f32_e32 v72, v45, v162
	ds_load_2addr_stride64_b64 v[42:45], v149 offset0:56 offset1:58
	s_wait_loadcnt_dscnt 0x100
	v_mul_f32_e32 v1, v43, v171
	v_mul_f32_e32 v74, v42, v171
	s_wait_loadcnt 0x0
	v_mul_f32_e32 v76, v44, v175
	s_delay_alu instid0(VALU_DEP_3) | instskip(NEXT) | instid1(VALU_DEP_3)
	v_fma_f32 v73, v42, v170, -v1
	v_dual_mul_f32 v1, v45, v175 :: v_dual_fmac_f32 v74, v43, v170
	s_delay_alu instid0(VALU_DEP_3) | instskip(NEXT) | instid1(VALU_DEP_2)
	v_fmac_f32_e32 v76, v45, v174
	v_fma_f32 v75, v44, v174, -v1
	ds_load_2addr_stride64_b64 v[42:45], v149 offset0:28 offset1:30
	s_wait_dscnt 0x0
	v_mul_f32_e32 v1, v45, v253
	v_dual_mul_f32 v2, v44, v253 :: v_dual_sub_f32 v75, v42, v75
	v_sub_f32_e32 v76, v43, v76
	s_delay_alu instid0(VALU_DEP_3) | instskip(NEXT) | instid1(VALU_DEP_3)
	v_fma_f32 v1, v44, v252, -v1
	v_fmac_f32_e32 v2, v45, v252
	ds_load_2addr_stride64_b64 v[44:47], v149 offset1:2
	v_fma_f32 v42, v42, 2.0, -v75
	v_fma_f32 v43, v43, 2.0, -v76
	s_wait_dscnt 0x0
	v_dual_sub_f32 v1, v44, v1 :: v_dual_sub_f32 v2, v45, v2
	v_dual_sub_f32 v3, v46, v3 :: v_dual_sub_f32 v4, v47, v4
	s_delay_alu instid0(VALU_DEP_2) | instskip(NEXT) | instid1(VALU_DEP_3)
	v_fma_f32 v5, v44, 2.0, -v1
	v_fma_f32 v6, v45, 2.0, -v2
	s_delay_alu instid0(VALU_DEP_3) | instskip(NEXT) | instid1(VALU_DEP_4)
	v_fma_f32 v7, v46, 2.0, -v3
	v_fma_f32 v8, v47, 2.0, -v4
	ds_load_2addr_stride64_b64 v[44:47], v149 offset0:4 offset1:6
	s_wait_dscnt 0x0
	v_dual_sub_f32 v9, v44, v9 :: v_dual_sub_f32 v10, v45, v10
	v_dual_sub_f32 v11, v46, v11 :: v_dual_sub_f32 v12, v47, v12
	s_delay_alu instid0(VALU_DEP_2) | instskip(NEXT) | instid1(VALU_DEP_3)
	v_fma_f32 v13, v44, 2.0, -v9
	v_fma_f32 v14, v45, 2.0, -v10
	s_delay_alu instid0(VALU_DEP_3) | instskip(NEXT) | instid1(VALU_DEP_4)
	v_fma_f32 v15, v46, 2.0, -v11
	v_fma_f32 v16, v47, 2.0, -v12
	ds_load_2addr_stride64_b64 v[44:47], v149 offset0:8 offset1:10
	;; [unrolled: 10-line block ×6, first 2 shown]
	global_wb scope:SCOPE_SE
	s_wait_dscnt 0x0
	s_barrier_signal -1
	s_barrier_wait -1
	global_inv scope:SCOPE_SE
	ds_store_2addr_stride64_b64 v149, v[5:6], v[7:8] offset1:2
	v_add_nc_u32_e32 v5, 0x800, v149
	v_cmp_lt_u64_e32 vcc_lo, 0x1df, v[49:50]
	ds_store_2addr_b64 v5, v[13:14], v[1:2] offset1:224
	v_add_nc_u32_e32 v1, 0x100, v149
	ds_store_2addr_stride64_b64 v1, v[3:4], v[9:10] offset0:9 offset1:11
	v_mov_b32_e32 v2, v1
	s_wait_alu 0xfffd
	v_cndmask_b32_e64 v1, 0, 0x3c0, vcc_lo
	v_dual_sub_f32 v71, v44, v71 :: v_dual_sub_f32 v72, v45, v72
	v_dual_sub_f32 v73, v46, v73 :: v_dual_sub_f32 v74, v47, v74
	s_delay_alu instid0(VALU_DEP_3) | instskip(NEXT) | instid1(VALU_DEP_3)
	v_add_lshl_u32 v0, v1, v0, 3
	v_fma_f32 v44, v44, 2.0, -v71
	s_delay_alu instid0(VALU_DEP_4) | instskip(NEXT) | instid1(VALU_DEP_4)
	v_fma_f32 v45, v45, 2.0, -v72
	v_fma_f32 v46, v46, 2.0, -v73
	;; [unrolled: 1-line block ×3, first 2 shown]
	scratch_store_b32 off, v0, off offset:740 ; 4-byte Folded Spill
	ds_store_b64 v0, v[15:16]
	ds_store_b64 v0, v[11:12] offset:3840
	ds_store_2addr_stride64_b64 v2, v[21:22], v[23:24] offset0:15 offset1:17
	v_add_nc_u32_e32 v0, 0x2700, v149
	ds_store_2addr_b64 v0, v[51:52], v[17:18] offset1:224
	ds_store_2addr_stride64_b64 v149, v[19:20], v[25:26] offset0:25 offset1:27
	v_mad_u16 v0, 0x3c0, v77, v78
	s_delay_alu instid0(VALU_DEP_1) | instskip(NEXT) | instid1(VALU_DEP_1)
	v_and_b32_e32 v0, 0xffff, v0
	v_lshlrev_b32_e32 v0, 3, v0
	scratch_store_b32 off, v0, off offset:720 ; 4-byte Folded Spill
	ds_store_b64 v0, v[53:54]
	ds_store_b64 v0, v[27:28] offset:3840
	v_mad_u16 v0, 0x3c0, v48, v79
	scratch_store_b32 off, v82, off offset:716 ; 4-byte Folded Spill
	ds_store_b64 v82, v[59:60] offset:15360
	ds_store_b64 v82, v[55:56] offset:19200
	scratch_store_b32 off, v81, off offset:712 ; 4-byte Folded Spill
	ds_store_b64 v81, v[61:62] offset:15360
	ds_store_b64 v81, v[57:58] offset:19200
	v_and_b32_e32 v0, 0xffff, v0
	scratch_store_b32 off, v80, off offset:708 ; 4-byte Folded Spill
	ds_store_b64 v80, v[67:68] offset:15360
	ds_store_b64 v80, v[63:64] offset:19200
	v_lshlrev_b32_e32 v0, 3, v0
	scratch_store_b32 off, v0, off offset:736 ; 4-byte Folded Spill
	ds_store_b64 v0, v[69:70]
	ds_store_b64 v0, v[65:66] offset:3840
	scratch_store_b32 off, v85, off offset:732 ; 4-byte Folded Spill
	ds_store_b64 v85, v[44:45] offset:23040
	ds_store_b64 v85, v[71:72] offset:26880
	scratch_store_b32 off, v84, off offset:728 ; 4-byte Folded Spill
	ds_store_b64 v84, v[46:47] offset:23040
	;; [unrolled: 3-line block ×3, first 2 shown]
	ds_store_b64 v83, v[75:76] offset:26880
	global_wb scope:SCOPE_SE
	s_wait_storecnt_dscnt 0x0
	s_barrier_signal -1
	s_barrier_wait -1
	global_inv scope:SCOPE_SE
	s_clause 0x2
	global_load_b64 v[254:255], v149, s[10:11] offset:8624
	global_load_b64 v[180:181], v149, s[10:11] offset:9136
	;; [unrolled: 1-line block ×3, first 2 shown]
	ds_load_2addr_stride64_b64 v[42:45], v149 offset0:32 offset1:34
	s_clause 0x3
	global_load_b64 v[172:173], v149, s[10:11] offset:9648
	global_load_b64 v[154:155], v149, s[10:11] offset:11184
	;; [unrolled: 1-line block ×4, first 2 shown]
	s_wait_loadcnt_dscnt 0x600
	v_mul_f32_e32 v0, v43, v255
	v_mul_f32_e32 v4, v42, v255
	s_wait_loadcnt 0x3
	v_mul_f32_e32 v10, v44, v173
	s_delay_alu instid0(VALU_DEP_3) | instskip(SKIP_2) | instid1(VALU_DEP_4)
	v_fma_f32 v3, v42, v254, -v0
	v_mul_f32_e32 v0, v45, v173
	v_fmac_f32_e32 v4, v43, v254
	v_fmac_f32_e32 v10, v45, v172
	s_delay_alu instid0(VALU_DEP_3)
	v_fma_f32 v9, v44, v172, -v0
	ds_load_2addr_stride64_b64 v[42:45], v149 offset0:36 offset1:38
	s_clause 0x3
	global_load_b64 v[168:169], v149, s[10:11] offset:11696
	global_load_b64 v[152:153], v149, s[10:11] offset:13232
	global_load_b64 v[145:146], v149, s[10:11] offset:12208
	global_load_b64 v[160:161], v149, s[10:11] offset:12720
	s_wait_loadcnt_dscnt 0x400
	v_mul_f32_e32 v0, v43, v165
	v_mul_f32_e32 v12, v42, v165
	s_delay_alu instid0(VALU_DEP_2) | instskip(NEXT) | instid1(VALU_DEP_2)
	v_fma_f32 v11, v42, v164, -v0
	v_fmac_f32_e32 v12, v43, v164
	s_wait_loadcnt 0x3
	v_mul_f32_e32 v0, v45, v169
	v_mul_f32_e32 v18, v44, v169
	s_delay_alu instid0(VALU_DEP_2) | instskip(NEXT) | instid1(VALU_DEP_2)
	v_fma_f32 v17, v44, v168, -v0
	v_fmac_f32_e32 v18, v45, v168
	ds_load_2addr_stride64_b64 v[42:45], v149 offset0:40 offset1:42
	s_clause 0x2
	global_load_b64 v[137:138], v149, s[10:11] offset:13744
	global_load_b64 v[143:144], v149, s[10:11] offset:14256
	;; [unrolled: 1-line block ×3, first 2 shown]
	s_wait_loadcnt_dscnt 0x300
	v_mul_f32_e32 v0, v43, v161
	v_mul_f32_e32 v20, v42, v161
	s_delay_alu instid0(VALU_DEP_2) | instskip(SKIP_1) | instid1(VALU_DEP_3)
	v_fma_f32 v19, v42, v160, -v0
	v_mov_b32_e32 v42, v50
	v_fmac_f32_e32 v20, v43, v160
	s_delay_alu instid0(VALU_DEP_2) | instskip(SKIP_3) | instid1(VALU_DEP_2)
	v_cmp_gt_u64_e32 vcc_lo, 0x3c0, v[41:42]
	s_wait_loadcnt 0x2
	v_mul_f32_e32 v0, v45, v138
	v_mul_f32_e32 v26, v44, v138
	v_fma_f32 v25, v44, v137, -v0
	v_add_co_u32 v0, s2, 0xffffffc0, v200
	s_wait_alu 0xf1ff
	v_add_co_ci_u32_e64 v1, null, 0, -1, s2
	v_fmac_f32_e32 v26, v45, v137
	s_wait_alu 0xfffd
	v_cndmask_b32_e32 v0, v0, v41, vcc_lo
	ds_load_2addr_stride64_b64 v[43:46], v149 offset0:44 offset1:46
	v_cndmask_b32_e64 v1, v1, 0, vcc_lo
	s_add_nc_u64 s[2:3], s[8:9], 0x7800
	s_delay_alu instid0(VALU_DEP_1) | instskip(NEXT) | instid1(VALU_DEP_1)
	v_lshlrev_b64_e32 v[1:2], 3, v[0:1]
	v_add_co_u32 v1, vcc_lo, s10, v1
	s_wait_alu 0xfffd
	s_delay_alu instid0(VALU_DEP_2)
	v_add_co_ci_u32_e32 v2, vcc_lo, s11, v2, vcc_lo
	v_cmp_lt_u64_e32 vcc_lo, 0x3bf, v[41:42]
	global_load_b64 v[131:132], v[1:2], off offset:7600
	s_wait_dscnt 0x0
	v_mul_f32_e32 v54, v45, v148
	s_wait_loadcnt 0x0
	s_delay_alu instid0(VALU_DEP_1) | instskip(SKIP_1) | instid1(VALU_DEP_2)
	v_dual_fmac_f32 v54, v46, v147 :: v_dual_mul_f32 v1, v44, v132
	v_mul_f32_e32 v28, v43, v132
	v_fma_f32 v27, v43, v131, -v1
	s_delay_alu instid0(VALU_DEP_2) | instskip(NEXT) | instid1(VALU_DEP_1)
	v_dual_mul_f32 v1, v46, v148 :: v_dual_fmac_f32 v28, v44, v131
	v_fma_f32 v53, v45, v147, -v1
	ds_load_2addr_stride64_b64 v[43:46], v149 offset0:48 offset1:50
	s_wait_dscnt 0x0
	v_mul_f32_e32 v1, v44, v181
	v_mul_f32_e32 v56, v43, v181
	;; [unrolled: 1-line block ×3, first 2 shown]
	s_delay_alu instid0(VALU_DEP_3) | instskip(NEXT) | instid1(VALU_DEP_3)
	v_fma_f32 v55, v43, v180, -v1
	v_dual_mul_f32 v1, v46, v151 :: v_dual_fmac_f32 v56, v44, v180
	s_delay_alu instid0(VALU_DEP_3) | instskip(NEXT) | instid1(VALU_DEP_2)
	v_fmac_f32_e32 v62, v46, v150
	v_fma_f32 v61, v45, v150, -v1
	ds_load_2addr_stride64_b64 v[43:46], v149 offset0:52 offset1:54
	s_wait_dscnt 0x0
	v_mul_f32_e32 v1, v44, v155
	v_mul_f32_e32 v64, v43, v155
	;; [unrolled: 1-line block ×3, first 2 shown]
	s_delay_alu instid0(VALU_DEP_3) | instskip(SKIP_1) | instid1(VALU_DEP_4)
	v_fma_f32 v63, v43, v154, -v1
	v_mul_f32_e32 v1, v46, v146
	v_fmac_f32_e32 v64, v44, v154
	s_delay_alu instid0(VALU_DEP_4) | instskip(NEXT) | instid1(VALU_DEP_3)
	v_fmac_f32_e32 v70, v46, v145
	v_fma_f32 v69, v45, v145, -v1
	ds_load_2addr_stride64_b64 v[43:46], v149 offset0:56 offset1:58
	s_wait_dscnt 0x0
	v_mul_f32_e32 v1, v44, v153
	v_mul_f32_e32 v72, v43, v153
	;; [unrolled: 1-line block ×3, first 2 shown]
	s_delay_alu instid0(VALU_DEP_3) | instskip(SKIP_1) | instid1(VALU_DEP_4)
	v_fma_f32 v71, v43, v152, -v1
	v_mul_f32_e32 v1, v46, v144
	v_fmac_f32_e32 v72, v44, v152
	s_delay_alu instid0(VALU_DEP_4) | instskip(NEXT) | instid1(VALU_DEP_3)
	v_fmac_f32_e32 v74, v46, v143
	v_fma_f32 v73, v45, v143, -v1
	ds_load_2addr_stride64_b64 v[43:46], v149 offset0:28 offset1:30
	s_wait_dscnt 0x0
	v_mul_f32_e32 v1, v46, v177
	v_mul_f32_e32 v2, v45, v177
	v_dual_sub_f32 v73, v43, v73 :: v_dual_sub_f32 v74, v44, v74
	s_delay_alu instid0(VALU_DEP_3) | instskip(NEXT) | instid1(VALU_DEP_3)
	v_fma_f32 v1, v45, v176, -v1
	v_fmac_f32_e32 v2, v46, v176
	ds_load_2addr_stride64_b64 v[45:48], v149 offset1:2
	v_fma_f32 v43, v43, 2.0, -v73
	v_fma_f32 v44, v44, 2.0, -v74
	s_wait_dscnt 0x0
	v_dual_sub_f32 v1, v45, v1 :: v_dual_sub_f32 v2, v46, v2
	v_dual_sub_f32 v3, v47, v3 :: v_dual_sub_f32 v4, v48, v4
	s_delay_alu instid0(VALU_DEP_2) | instskip(NEXT) | instid1(VALU_DEP_3)
	v_fma_f32 v5, v45, 2.0, -v1
	v_fma_f32 v6, v46, 2.0, -v2
	s_delay_alu instid0(VALU_DEP_3) | instskip(NEXT) | instid1(VALU_DEP_4)
	v_fma_f32 v7, v47, 2.0, -v3
	v_fma_f32 v8, v48, 2.0, -v4
	ds_load_2addr_stride64_b64 v[45:48], v149 offset0:4 offset1:6
	s_wait_dscnt 0x0
	v_dual_sub_f32 v9, v45, v9 :: v_dual_sub_f32 v10, v46, v10
	v_dual_sub_f32 v11, v47, v11 :: v_dual_sub_f32 v12, v48, v12
	s_delay_alu instid0(VALU_DEP_2) | instskip(NEXT) | instid1(VALU_DEP_3)
	v_fma_f32 v13, v45, 2.0, -v9
	v_fma_f32 v14, v46, 2.0, -v10
	s_delay_alu instid0(VALU_DEP_3) | instskip(NEXT) | instid1(VALU_DEP_4)
	v_fma_f32 v15, v47, 2.0, -v11
	v_fma_f32 v16, v48, 2.0, -v12
	ds_load_2addr_stride64_b64 v[45:48], v149 offset0:8 offset1:10
	s_wait_dscnt 0x0
	v_dual_sub_f32 v17, v45, v17 :: v_dual_sub_f32 v18, v46, v18
	v_dual_sub_f32 v19, v47, v19 :: v_dual_sub_f32 v20, v48, v20
	s_delay_alu instid0(VALU_DEP_2) | instskip(NEXT) | instid1(VALU_DEP_3)
	v_fma_f32 v21, v45, 2.0, -v17
	v_fma_f32 v22, v46, 2.0, -v18
	s_delay_alu instid0(VALU_DEP_3) | instskip(NEXT) | instid1(VALU_DEP_4)
	v_fma_f32 v23, v47, 2.0, -v19
	v_fma_f32 v24, v48, 2.0, -v20
	ds_load_2addr_stride64_b64 v[45:48], v149 offset0:12 offset1:14
	s_wait_dscnt 0x0
	v_dual_sub_f32 v25, v45, v25 :: v_dual_sub_f32 v26, v46, v26
	v_dual_sub_f32 v27, v47, v27 :: v_dual_sub_f32 v28, v48, v28
	s_delay_alu instid0(VALU_DEP_2) | instskip(NEXT) | instid1(VALU_DEP_3)
	v_fma_f32 v49, v45, 2.0, -v25
	v_fma_f32 v50, v46, 2.0, -v26
	s_delay_alu instid0(VALU_DEP_3) | instskip(NEXT) | instid1(VALU_DEP_4)
	v_fma_f32 v51, v47, 2.0, -v27
	v_fma_f32 v52, v48, 2.0, -v28
	ds_load_2addr_stride64_b64 v[45:48], v149 offset0:16 offset1:18
	s_wait_dscnt 0x0
	v_dual_sub_f32 v53, v45, v53 :: v_dual_sub_f32 v54, v46, v54
	v_dual_sub_f32 v55, v47, v55 :: v_dual_sub_f32 v56, v48, v56
	s_delay_alu instid0(VALU_DEP_2) | instskip(NEXT) | instid1(VALU_DEP_3)
	v_fma_f32 v57, v45, 2.0, -v53
	v_fma_f32 v58, v46, 2.0, -v54
	s_delay_alu instid0(VALU_DEP_3) | instskip(NEXT) | instid1(VALU_DEP_4)
	v_fma_f32 v59, v47, 2.0, -v55
	v_fma_f32 v60, v48, 2.0, -v56
	ds_load_2addr_stride64_b64 v[45:48], v149 offset0:20 offset1:22
	s_wait_dscnt 0x0
	v_dual_sub_f32 v61, v45, v61 :: v_dual_sub_f32 v62, v46, v62
	v_dual_sub_f32 v63, v47, v63 :: v_dual_sub_f32 v64, v48, v64
	s_delay_alu instid0(VALU_DEP_2) | instskip(NEXT) | instid1(VALU_DEP_3)
	v_fma_f32 v65, v45, 2.0, -v61
	v_fma_f32 v66, v46, 2.0, -v62
	s_delay_alu instid0(VALU_DEP_3) | instskip(NEXT) | instid1(VALU_DEP_4)
	v_fma_f32 v67, v47, 2.0, -v63
	v_fma_f32 v68, v48, 2.0, -v64
	ds_load_2addr_stride64_b64 v[45:48], v149 offset0:24 offset1:26
	global_wb scope:SCOPE_SE
	s_wait_dscnt 0x0
	s_barrier_signal -1
	s_barrier_wait -1
	global_inv scope:SCOPE_SE
	ds_store_2addr_stride64_b64 v149, v[3:4], v[9:10] offset0:17 offset1:19
	ds_store_2addr_stride64_b64 v149, v[11:12], v[17:18] offset0:21 offset1:23
	;; [unrolled: 1-line block ×3, first 2 shown]
	ds_store_2addr_stride64_b64 v149, v[5:6], v[7:8] offset1:2
	ds_store_2addr_stride64_b64 v149, v[13:14], v[15:16] offset0:4 offset1:6
	ds_store_2addr_stride64_b64 v149, v[21:22], v[23:24] offset0:8 offset1:10
	;; [unrolled: 1-line block ×3, first 2 shown]
	s_wait_alu 0xfffd
	v_cndmask_b32_e64 v1, 0, 0x780, vcc_lo
	s_delay_alu instid0(VALU_DEP_1) | instskip(SKIP_3) | instid1(VALU_DEP_2)
	v_add_lshl_u32 v0, v1, v0, 3
	scratch_store_b32 off, v0, off offset:744 ; 4-byte Folded Spill
	v_dual_sub_f32 v69, v45, v69 :: v_dual_sub_f32 v70, v46, v70
	v_dual_sub_f32 v71, v47, v71 :: v_dual_sub_f32 v72, v48, v72
	v_fma_f32 v45, v45, 2.0, -v69
	s_delay_alu instid0(VALU_DEP_3) | instskip(NEXT) | instid1(VALU_DEP_3)
	v_fma_f32 v46, v46, 2.0, -v70
	v_fma_f32 v47, v47, 2.0, -v71
	s_delay_alu instid0(VALU_DEP_4)
	v_fma_f32 v48, v48, 2.0, -v72
	ds_store_2addr_stride64_b64 v0, v[51:52], v[27:28] offset1:15
	ds_store_2addr_stride64_b64 v149, v[57:58], v[59:60] offset0:31 offset1:33
	ds_store_2addr_stride64_b64 v149, v[55:56], v[61:62] offset0:48 offset1:50
	;; [unrolled: 1-line block ×7, first 2 shown]
	global_wb scope:SCOPE_SE
	s_wait_storecnt_dscnt 0x0
	s_barrier_signal -1
	s_barrier_wait -1
	global_inv scope:SCOPE_SE
	s_clause 0x3
	global_load_b64 v[141:142], v149, s[10:11] offset:16304
	global_load_b64 v[135:136], v149, s[10:11] offset:17328
	;; [unrolled: 1-line block ×4, first 2 shown]
	ds_load_2addr_stride64_b64 v[41:44], v149 offset0:32 offset1:34
	s_wait_loadcnt_dscnt 0x300
	v_mul_f32_e32 v0, v42, v142
	v_mul_f32_e32 v3, v41, v142
	s_wait_loadcnt 0x2
	v_mul_f32_e32 v9, v43, v136
	s_delay_alu instid0(VALU_DEP_3) | instskip(NEXT) | instid1(VALU_DEP_3)
	v_fma_f32 v2, v41, v141, -v0
	v_dual_mul_f32 v0, v44, v136 :: v_dual_fmac_f32 v3, v42, v141
	s_delay_alu instid0(VALU_DEP_3) | instskip(NEXT) | instid1(VALU_DEP_2)
	v_fmac_f32_e32 v9, v44, v135
	v_fma_f32 v8, v43, v135, -v0
	ds_load_2addr_stride64_b64 v[41:44], v149 offset0:36 offset1:38
	s_clause 0x3
	global_load_b64 v[79:80], v149, s[10:11] offset:19376
	global_load_b64 v[82:83], v149, s[10:11] offset:20400
	;; [unrolled: 1-line block ×4, first 2 shown]
	s_wait_loadcnt_dscnt 0x500
	v_mul_f32_e32 v0, v42, v140
	v_mul_f32_e32 v11, v41, v140
	s_delay_alu instid0(VALU_DEP_2) | instskip(SKIP_1) | instid1(VALU_DEP_2)
	v_fma_f32 v10, v41, v139, -v0
	s_wait_loadcnt 0x3
	v_dual_fmac_f32 v11, v42, v139 :: v_dual_mul_f32 v0, v44, v80
	v_mul_f32_e32 v17, v43, v80
	s_delay_alu instid0(VALU_DEP_2) | instskip(NEXT) | instid1(VALU_DEP_2)
	v_fma_f32 v16, v43, v79, -v0
	v_fmac_f32_e32 v17, v44, v79
	ds_load_2addr_stride64_b64 v[41:44], v149 offset0:40 offset1:42
	s_wait_loadcnt_dscnt 0x200
	v_mul_f32_e32 v0, v42, v83
	v_mul_f32_e32 v19, v41, v83
	s_wait_loadcnt 0x1
	v_mul_f32_e32 v25, v43, v85
	s_delay_alu instid0(VALU_DEP_3) | instskip(NEXT) | instid1(VALU_DEP_3)
	v_fma_f32 v18, v41, v82, -v0
	v_dual_mul_f32 v0, v44, v85 :: v_dual_fmac_f32 v19, v42, v82
	s_delay_alu instid0(VALU_DEP_3) | instskip(NEXT) | instid1(VALU_DEP_2)
	v_fmac_f32_e32 v25, v44, v84
	v_fma_f32 v24, v43, v84, -v0
	ds_load_2addr_stride64_b64 v[41:44], v149 offset0:44 offset1:46
	s_clause 0x3
	global_load_b64 v[86:87], v149, s[10:11] offset:23472
	global_load_b64 v[88:89], v149, s[10:11] offset:24496
	;; [unrolled: 1-line block ×4, first 2 shown]
	s_wait_loadcnt_dscnt 0x400
	v_mul_f32_e32 v0, v42, v91
	v_mul_f32_e32 v27, v41, v91
	s_delay_alu instid0(VALU_DEP_2) | instskip(SKIP_1) | instid1(VALU_DEP_2)
	v_fma_f32 v26, v41, v90, -v0
	s_wait_loadcnt 0x3
	v_dual_fmac_f32 v27, v42, v90 :: v_dual_mul_f32 v0, v44, v87
	v_mul_f32_e32 v52, v43, v87
	s_delay_alu instid0(VALU_DEP_2) | instskip(NEXT) | instid1(VALU_DEP_2)
	v_fma_f32 v28, v43, v86, -v0
	v_fmac_f32_e32 v52, v44, v86
	ds_load_2addr_stride64_b64 v[41:44], v149 offset0:48 offset1:50
	s_wait_loadcnt_dscnt 0x200
	v_mul_f32_e32 v0, v42, v89
	v_mul_f32_e32 v54, v41, v89
	s_wait_loadcnt 0x1
	v_mul_f32_e32 v60, v43, v95
	s_delay_alu instid0(VALU_DEP_3) | instskip(SKIP_2) | instid1(VALU_DEP_4)
	v_fma_f32 v53, v41, v88, -v0
	v_mul_f32_e32 v0, v44, v95
	v_fmac_f32_e32 v54, v42, v88
	v_fmac_f32_e32 v60, v44, v94
	s_delay_alu instid0(VALU_DEP_3)
	v_fma_f32 v59, v43, v94, -v0
	ds_load_2addr_stride64_b64 v[41:44], v149 offset0:52 offset1:54
	s_clause 0x2
	global_load_b64 v[92:93], v149, s[10:11] offset:27568
	global_load_b64 v[98:99], v149, s[10:11] offset:28592
	;; [unrolled: 1-line block ×3, first 2 shown]
	s_wait_loadcnt_dscnt 0x300
	v_mul_f32_e32 v0, v42, v97
	v_mul_f32_e32 v62, v41, v97
	s_delay_alu instid0(VALU_DEP_2) | instskip(NEXT) | instid1(VALU_DEP_2)
	v_fma_f32 v61, v41, v96, -v0
	v_fmac_f32_e32 v62, v42, v96
	s_wait_loadcnt 0x2
	v_mul_f32_e32 v0, v44, v93
	v_mul_f32_e32 v68, v43, v93
	s_delay_alu instid0(VALU_DEP_2) | instskip(NEXT) | instid1(VALU_DEP_2)
	v_fma_f32 v67, v43, v92, -v0
	v_fmac_f32_e32 v68, v44, v92
	ds_load_2addr_stride64_b64 v[41:44], v149 offset0:56 offset1:58
	s_wait_loadcnt_dscnt 0x100
	v_mul_f32_e32 v0, v42, v99
	v_mul_f32_e32 v70, v41, v99
	s_wait_loadcnt 0x0
	v_mul_f32_e32 v72, v43, v101
	s_delay_alu instid0(VALU_DEP_3) | instskip(SKIP_2) | instid1(VALU_DEP_4)
	v_fma_f32 v69, v41, v98, -v0
	v_mul_f32_e32 v0, v44, v101
	v_fmac_f32_e32 v70, v42, v98
	v_fmac_f32_e32 v72, v44, v100
	s_delay_alu instid0(VALU_DEP_3)
	v_fma_f32 v71, v43, v100, -v0
	ds_load_2addr_stride64_b64 v[41:44], v149 offset0:28 offset1:30
	s_wait_dscnt 0x0
	v_mul_f32_e32 v0, v44, v134
	v_mul_f32_e32 v1, v43, v134
	v_dual_sub_f32 v71, v41, v71 :: v_dual_sub_f32 v72, v42, v72
	s_delay_alu instid0(VALU_DEP_3) | instskip(NEXT) | instid1(VALU_DEP_3)
	v_fma_f32 v0, v43, v133, -v0
	v_fmac_f32_e32 v1, v44, v133
	ds_load_2addr_stride64_b64 v[43:46], v149 offset1:2
	v_fma_f32 v41, v41, 2.0, -v71
	v_fma_f32 v42, v42, 2.0, -v72
	s_wait_dscnt 0x0
	v_dual_sub_f32 v0, v43, v0 :: v_dual_sub_f32 v1, v44, v1
	v_dual_sub_f32 v2, v45, v2 :: v_dual_sub_f32 v3, v46, v3
	s_delay_alu instid0(VALU_DEP_2) | instskip(NEXT) | instid1(VALU_DEP_3)
	v_fma_f32 v4, v43, 2.0, -v0
	v_fma_f32 v5, v44, 2.0, -v1
	s_delay_alu instid0(VALU_DEP_3) | instskip(NEXT) | instid1(VALU_DEP_4)
	v_fma_f32 v6, v45, 2.0, -v2
	v_fma_f32 v7, v46, 2.0, -v3
	ds_load_2addr_stride64_b64 v[43:46], v149 offset0:4 offset1:6
	s_wait_dscnt 0x0
	v_dual_sub_f32 v8, v43, v8 :: v_dual_sub_f32 v9, v44, v9
	v_dual_sub_f32 v10, v45, v10 :: v_dual_sub_f32 v11, v46, v11
	s_delay_alu instid0(VALU_DEP_2) | instskip(NEXT) | instid1(VALU_DEP_3)
	v_fma_f32 v12, v43, 2.0, -v8
	v_fma_f32 v13, v44, 2.0, -v9
	s_delay_alu instid0(VALU_DEP_3) | instskip(NEXT) | instid1(VALU_DEP_4)
	v_fma_f32 v14, v45, 2.0, -v10
	v_fma_f32 v15, v46, 2.0, -v11
	ds_load_2addr_stride64_b64 v[43:46], v149 offset0:8 offset1:10
	;; [unrolled: 10-line block ×4, first 2 shown]
	s_wait_dscnt 0x0
	v_sub_f32_e32 v51, v43, v28
	v_dual_sub_f32 v52, v44, v52 :: v_dual_sub_f32 v53, v45, v53
	v_sub_f32_e32 v54, v46, v54
	s_delay_alu instid0(VALU_DEP_3) | instskip(NEXT) | instid1(VALU_DEP_3)
	v_fma_f32 v55, v43, 2.0, -v51
	v_fma_f32 v56, v44, 2.0, -v52
	s_delay_alu instid0(VALU_DEP_4) | instskip(NEXT) | instid1(VALU_DEP_4)
	v_fma_f32 v57, v45, 2.0, -v53
	v_fma_f32 v58, v46, 2.0, -v54
	ds_load_2addr_stride64_b64 v[43:46], v149 offset0:20 offset1:22
	s_wait_dscnt 0x0
	v_dual_sub_f32 v59, v43, v59 :: v_dual_sub_f32 v60, v44, v60
	v_dual_sub_f32 v61, v45, v61 :: v_dual_sub_f32 v62, v46, v62
	s_delay_alu instid0(VALU_DEP_2) | instskip(NEXT) | instid1(VALU_DEP_3)
	v_fma_f32 v63, v43, 2.0, -v59
	v_fma_f32 v64, v44, 2.0, -v60
	s_delay_alu instid0(VALU_DEP_3) | instskip(NEXT) | instid1(VALU_DEP_4)
	v_fma_f32 v65, v45, 2.0, -v61
	v_fma_f32 v66, v46, 2.0, -v62
	ds_load_2addr_stride64_b64 v[43:46], v149 offset0:24 offset1:26
	s_wait_dscnt 0x0
	v_dual_sub_f32 v67, v43, v67 :: v_dual_sub_f32 v68, v44, v68
	v_dual_sub_f32 v69, v45, v69 :: v_dual_sub_f32 v70, v46, v70
	s_delay_alu instid0(VALU_DEP_2) | instskip(NEXT) | instid1(VALU_DEP_3)
	v_fma_f32 v43, v43, 2.0, -v67
	v_fma_f32 v44, v44, 2.0, -v68
	s_delay_alu instid0(VALU_DEP_3) | instskip(NEXT) | instid1(VALU_DEP_4)
	v_fma_f32 v45, v45, 2.0, -v69
	v_fma_f32 v46, v46, 2.0, -v70
	ds_store_2addr_stride64_b64 v149, v[2:3], v[8:9] offset0:32 offset1:34
	ds_store_2addr_stride64_b64 v149, v[10:11], v[16:17] offset0:36 offset1:38
	;; [unrolled: 1-line block ×7, first 2 shown]
	ds_store_2addr_stride64_b64 v149, v[4:5], v[6:7] offset1:2
	ds_store_2addr_stride64_b64 v149, v[12:13], v[14:15] offset0:4 offset1:6
	ds_store_2addr_stride64_b64 v149, v[20:21], v[22:23] offset0:8 offset1:10
	;; [unrolled: 1-line block ×7, first 2 shown]
	global_wb scope:SCOPE_SE
	s_wait_dscnt 0x0
	s_barrier_signal -1
	s_barrier_wait -1
	global_inv scope:SCOPE_SE
	s_clause 0x1
	global_load_b64 v[0:1], v149, s[8:9] offset:30720
	global_load_b64 v[2:3], v149, s[2:3] offset:29696
	ds_load_2addr_stride64_b64 v[41:44], v149 offset1:2
	s_wait_loadcnt_dscnt 0x100
	v_mul_f32_e32 v4, v42, v1
	v_mul_f32_e32 v5, v41, v1
	s_delay_alu instid0(VALU_DEP_2) | instskip(NEXT) | instid1(VALU_DEP_2)
	v_fma_f32 v4, v41, v0, -v4
	v_fmac_f32_e32 v5, v42, v0
	s_clause 0x2
	global_load_b64 v[0:1], v149, s[2:3] offset:1024
	global_load_b64 v[6:7], v149, s[2:3] offset:4096
	;; [unrolled: 1-line block ×3, first 2 shown]
	s_wait_loadcnt 0x2
	v_mul_f32_e32 v10, v44, v1
	v_mul_f32_e32 v11, v43, v1
	s_delay_alu instid0(VALU_DEP_2) | instskip(NEXT) | instid1(VALU_DEP_2)
	v_fma_f32 v10, v43, v0, -v10
	v_fmac_f32_e32 v11, v44, v0
	s_clause 0x3
	global_load_b64 v[0:1], v149, s[2:3] offset:6144
	global_load_b64 v[12:13], v149, s[2:3] offset:7168
	;; [unrolled: 1-line block ×4, first 2 shown]
	ds_load_2addr_stride64_b64 v[41:44], v149 offset0:12 offset1:14
	s_wait_loadcnt_dscnt 0x300
	v_mul_f32_e32 v18, v42, v1
	v_mul_f32_e32 v19, v41, v1
	s_wait_loadcnt 0x2
	v_mul_f32_e32 v1, v43, v13
	s_delay_alu instid0(VALU_DEP_3) | instskip(NEXT) | instid1(VALU_DEP_3)
	v_fma_f32 v18, v41, v0, -v18
	v_dual_fmac_f32 v19, v42, v0 :: v_dual_mul_f32 v0, v44, v13
	s_delay_alu instid0(VALU_DEP_3) | instskip(NEXT) | instid1(VALU_DEP_2)
	v_fmac_f32_e32 v1, v44, v12
	v_fma_f32 v0, v43, v12, -v0
	s_clause 0x1
	global_load_b64 v[12:13], v149, s[2:3] offset:12288
	global_load_b64 v[20:21], v149, s[2:3] offset:11264
	ds_load_2addr_stride64_b64 v[41:44], v149 offset0:24 offset1:26
	s_wait_loadcnt_dscnt 0x100
	v_mul_f32_e32 v22, v42, v13
	v_mul_f32_e32 v23, v41, v13
	s_delay_alu instid0(VALU_DEP_2) | instskip(NEXT) | instid1(VALU_DEP_2)
	v_fma_f32 v22, v41, v12, -v22
	v_fmac_f32_e32 v23, v42, v12
	s_clause 0x2
	global_load_b64 v[12:13], v149, s[2:3] offset:13312
	global_load_b64 v[24:25], v149, s[2:3] offset:16384
	;; [unrolled: 1-line block ×3, first 2 shown]
	s_wait_loadcnt 0x2
	v_mul_f32_e32 v28, v44, v13
	v_mul_f32_e32 v46, v43, v13
	s_delay_alu instid0(VALU_DEP_2) | instskip(NEXT) | instid1(VALU_DEP_2)
	v_fma_f32 v45, v43, v12, -v28
	v_fmac_f32_e32 v46, v44, v12
	s_clause 0x3
	global_load_b64 v[12:13], v149, s[2:3] offset:18432
	global_load_b64 v[47:48], v149, s[2:3] offset:19456
	;; [unrolled: 1-line block ×4, first 2 shown]
	ds_load_2addr_stride64_b64 v[41:44], v149 offset0:36 offset1:38
	s_wait_loadcnt_dscnt 0x300
	v_mul_f32_e32 v28, v42, v13
	s_wait_loadcnt 0x2
	v_dual_mul_f32 v54, v41, v13 :: v_dual_mul_f32 v13, v43, v48
	s_delay_alu instid0(VALU_DEP_2) | instskip(NEXT) | instid1(VALU_DEP_2)
	v_fma_f32 v53, v41, v12, -v28
	v_fmac_f32_e32 v54, v42, v12
	v_mul_f32_e32 v12, v44, v48
	s_delay_alu instid0(VALU_DEP_4) | instskip(NEXT) | instid1(VALU_DEP_2)
	v_fmac_f32_e32 v13, v44, v47
	v_fma_f32 v12, v43, v47, -v12
	s_clause 0x1
	global_load_b64 v[47:48], v149, s[2:3] offset:24576
	global_load_b64 v[55:56], v149, s[2:3] offset:23552
	ds_load_2addr_stride64_b64 v[41:44], v149 offset0:48 offset1:50
	s_wait_loadcnt_dscnt 0x100
	v_mul_f32_e32 v28, v42, v48
	v_mul_f32_e32 v58, v41, v48
	s_delay_alu instid0(VALU_DEP_2) | instskip(NEXT) | instid1(VALU_DEP_2)
	v_fma_f32 v57, v41, v47, -v28
	v_fmac_f32_e32 v58, v42, v47
	s_clause 0x3
	global_load_b64 v[41:42], v149, s[2:3] offset:25600
	global_load_b64 v[47:48], v149, s[2:3] offset:28672
	;; [unrolled: 1-line block ×4, first 2 shown]
	s_wait_loadcnt 0x3
	v_mul_f32_e32 v28, v44, v42
	v_mul_f32_e32 v62, v43, v42
	s_delay_alu instid0(VALU_DEP_2) | instskip(NEXT) | instid1(VALU_DEP_2)
	v_fma_f32 v61, v43, v41, -v28
	v_fmac_f32_e32 v62, v44, v41
	ds_load_2addr_stride64_b64 v[41:44], v149 offset0:4 offset1:6
	s_wait_loadcnt_dscnt 0x0
	v_mul_f32_e32 v28, v44, v64
	v_mul_f32_e32 v66, v43, v64
	;; [unrolled: 1-line block ×3, first 2 shown]
	s_delay_alu instid0(VALU_DEP_3) | instskip(SKIP_1) | instid1(VALU_DEP_4)
	v_fma_f32 v65, v43, v63, -v28
	v_mul_f32_e32 v28, v42, v9
	v_fmac_f32_e32 v66, v44, v63
	s_delay_alu instid0(VALU_DEP_4) | instskip(NEXT) | instid1(VALU_DEP_3)
	v_fmac_f32_e32 v64, v42, v8
	v_fma_f32 v63, v41, v8, -v28
	ds_load_2addr_stride64_b64 v[41:44], v149 offset0:8 offset1:10
	s_wait_dscnt 0x0
	v_mul_f32_e32 v8, v42, v7
	v_mul_f32_e32 v9, v41, v7
	;; [unrolled: 1-line block ×3, first 2 shown]
	s_delay_alu instid0(VALU_DEP_3) | instskip(NEXT) | instid1(VALU_DEP_3)
	v_fma_f32 v8, v41, v6, -v8
	v_dual_fmac_f32 v9, v42, v6 :: v_dual_mul_f32 v6, v44, v17
	s_delay_alu instid0(VALU_DEP_3) | instskip(NEXT) | instid1(VALU_DEP_2)
	v_fmac_f32_e32 v7, v44, v16
	v_fma_f32 v6, v43, v16, -v6
	s_clause 0x1
	global_load_b64 v[16:17], v149, s[2:3] offset:9216
	global_load_b64 v[67:68], v149, s[2:3] offset:10240
	ds_load_2addr_stride64_b64 v[41:44], v149 offset0:16 offset1:18
	s_wait_loadcnt_dscnt 0x100
	v_mul_f32_e32 v28, v44, v17
	v_dual_mul_f32 v70, v43, v17 :: v_dual_mul_f32 v17, v41, v15
	s_delay_alu instid0(VALU_DEP_2) | instskip(NEXT) | instid1(VALU_DEP_2)
	v_fma_f32 v69, v43, v16, -v28
	v_fmac_f32_e32 v70, v44, v16
	v_mul_f32_e32 v16, v42, v15
	s_delay_alu instid0(VALU_DEP_4) | instskip(NEXT) | instid1(VALU_DEP_2)
	v_fmac_f32_e32 v17, v42, v14
	v_fma_f32 v16, v41, v14, -v16
	ds_load_2addr_stride64_b64 v[41:44], v149 offset0:20 offset1:22
	s_wait_loadcnt_dscnt 0x0
	v_mul_f32_e32 v14, v42, v68
	v_dual_mul_f32 v15, v41, v68 :: v_dual_mul_f32 v28, v44, v21
	v_mul_f32_e32 v68, v43, v21
	s_delay_alu instid0(VALU_DEP_3) | instskip(NEXT) | instid1(VALU_DEP_3)
	v_fma_f32 v14, v41, v67, -v14
	v_fmac_f32_e32 v15, v42, v67
	s_delay_alu instid0(VALU_DEP_4) | instskip(NEXT) | instid1(VALU_DEP_4)
	v_fma_f32 v67, v43, v20, -v28
	v_fmac_f32_e32 v68, v44, v20
	global_load_b64 v[20:21], v149, s[2:3] offset:15360
	ds_load_2addr_stride64_b64 v[41:44], v149 offset0:28 offset1:30
	s_wait_loadcnt_dscnt 0x0
	v_mul_f32_e32 v28, v44, v21
	v_dual_mul_f32 v72, v43, v21 :: v_dual_mul_f32 v21, v41, v27
	s_delay_alu instid0(VALU_DEP_2) | instskip(NEXT) | instid1(VALU_DEP_2)
	v_fma_f32 v71, v43, v20, -v28
	v_fmac_f32_e32 v72, v44, v20
	v_mul_f32_e32 v20, v42, v27
	s_delay_alu instid0(VALU_DEP_4) | instskip(NEXT) | instid1(VALU_DEP_2)
	v_fmac_f32_e32 v21, v42, v26
	v_fma_f32 v20, v41, v26, -v20
	ds_load_2addr_stride64_b64 v[41:44], v149 offset0:32 offset1:34
	s_wait_dscnt 0x0
	v_mul_f32_e32 v26, v42, v25
	v_mul_f32_e32 v27, v41, v25
	;; [unrolled: 1-line block ×3, first 2 shown]
	s_delay_alu instid0(VALU_DEP_3) | instskip(NEXT) | instid1(VALU_DEP_3)
	v_fma_f32 v26, v41, v24, -v26
	v_fmac_f32_e32 v27, v42, v24
	v_mul_f32_e32 v24, v44, v52
	s_delay_alu instid0(VALU_DEP_4) | instskip(NEXT) | instid1(VALU_DEP_2)
	v_fmac_f32_e32 v25, v44, v51
	v_fma_f32 v24, v43, v51, -v24
	s_clause 0x1
	global_load_b64 v[51:52], v149, s[2:3] offset:21504
	global_load_b64 v[73:74], v149, s[2:3] offset:22528
	ds_load_2addr_stride64_b64 v[41:44], v149 offset0:40 offset1:42
	s_wait_loadcnt_dscnt 0x100
	v_mul_f32_e32 v28, v44, v52
	v_mul_f32_e32 v76, v43, v52
	;; [unrolled: 1-line block ×3, first 2 shown]
	s_delay_alu instid0(VALU_DEP_3) | instskip(SKIP_1) | instid1(VALU_DEP_4)
	v_fma_f32 v75, v43, v51, -v28
	v_mul_f32_e32 v28, v42, v50
	v_fmac_f32_e32 v76, v44, v51
	s_delay_alu instid0(VALU_DEP_4) | instskip(NEXT) | instid1(VALU_DEP_3)
	v_fmac_f32_e32 v52, v42, v49
	v_fma_f32 v51, v41, v49, -v28
	ds_load_2addr_stride64_b64 v[41:44], v149 offset0:44 offset1:46
	s_wait_loadcnt_dscnt 0x0
	v_mul_f32_e32 v28, v42, v74
	v_mul_f32_e32 v50, v41, v74
	;; [unrolled: 1-line block ×3, first 2 shown]
	s_delay_alu instid0(VALU_DEP_3) | instskip(SKIP_1) | instid1(VALU_DEP_4)
	v_fma_f32 v49, v41, v73, -v28
	v_mul_f32_e32 v28, v44, v56
	v_fmac_f32_e32 v50, v42, v73
	s_delay_alu instid0(VALU_DEP_4) | instskip(NEXT) | instid1(VALU_DEP_3)
	v_fmac_f32_e32 v74, v44, v55
	v_fma_f32 v73, v43, v55, -v28
	global_load_b64 v[55:56], v149, s[2:3] offset:27648
	ds_load_2addr_stride64_b64 v[41:44], v149 offset0:52 offset1:54
	s_mov_b32 s2, 0x11111111
	s_mov_b32 s3, 0x3f311111
	s_wait_loadcnt_dscnt 0x0
	v_mul_f32_e32 v28, v44, v56
	v_mul_f32_e32 v157, v43, v56
	;; [unrolled: 1-line block ×3, first 2 shown]
	s_delay_alu instid0(VALU_DEP_3) | instskip(NEXT) | instid1(VALU_DEP_3)
	v_fma_f32 v156, v43, v55, -v28
	v_dual_mul_f32 v28, v42, v60 :: v_dual_fmac_f32 v157, v44, v55
	s_delay_alu instid0(VALU_DEP_3) | instskip(NEXT) | instid1(VALU_DEP_2)
	v_fmac_f32_e32 v56, v42, v59
	v_fma_f32 v55, v41, v59, -v28
	ds_load_2addr_stride64_b64 v[41:44], v149 offset0:56 offset1:58
	s_wait_dscnt 0x0
	v_mul_f32_e32 v28, v42, v48
	v_mul_f32_e32 v60, v41, v48
	s_delay_alu instid0(VALU_DEP_2) | instskip(NEXT) | instid1(VALU_DEP_2)
	v_fma_f32 v59, v41, v47, -v28
	v_fmac_f32_e32 v60, v42, v47
	v_mul_f32_e32 v28, v44, v3
	v_mul_f32_e32 v42, v43, v3
	s_delay_alu instid0(VALU_DEP_2) | instskip(NEXT) | instid1(VALU_DEP_2)
	v_fma_f32 v41, v43, v2, -v28
	v_fmac_f32_e32 v42, v44, v2
	ds_store_2addr_stride64_b64 v149, v[4:5], v[10:11] offset1:2
	ds_store_2addr_stride64_b64 v149, v[18:19], v[0:1] offset0:12 offset1:14
	ds_store_2addr_stride64_b64 v149, v[22:23], v[45:46] offset0:24 offset1:26
	;; [unrolled: 1-line block ×14, first 2 shown]
	global_wb scope:SCOPE_SE
	s_wait_dscnt 0x0
	s_barrier_signal -1
	s_barrier_wait -1
	global_inv scope:SCOPE_SE
	ds_load_2addr_stride64_b64 v[57:60], v149 offset0:12 offset1:14
	ds_load_2addr_stride64_b64 v[61:64], v149 offset0:24 offset1:26
	;; [unrolled: 1-line block ×8, first 2 shown]
	ds_load_2addr_stride64_b64 v[12:15], v149 offset1:2
	ds_load_2addr_stride64_b64 v[73:76], v149 offset0:4 offset1:6
	s_wait_dscnt 0x8
	v_sub_f32_e32 v0, v57, v61
	s_wait_dscnt 0x6
	v_dual_sub_f32 v1, v65, v69 :: v_dual_sub_f32 v2, v70, v66
	s_wait_dscnt 0x2
	v_dual_sub_f32 v3, v55, v51 :: v_dual_sub_f32 v4, v56, v52
	v_sub_f32_e32 v183, v62, v70
	s_delay_alu instid0(VALU_DEP_3) | instskip(SKIP_3) | instid1(VALU_DEP_3)
	v_dual_add_f32 v81, v0, v1 :: v_dual_sub_f32 v0, v58, v62
	v_sub_f32_e32 v1, v66, v70
	v_dual_sub_f32 v102, v58, v66 :: v_dual_sub_f32 v187, v61, v69
	v_dual_sub_f32 v189, v57, v65 :: v_dual_sub_f32 v188, v48, v56
	v_add_f32_e32 v78, v0, v1
	v_sub_f32_e32 v0, v43, v47
	v_sub_f32_e32 v1, v51, v55
	v_dual_sub_f32 v191, v44, v52 :: v_dual_sub_f32 v190, v47, v55
	v_sub_f32_e32 v193, v43, v51
	s_delay_alu instid0(VALU_DEP_3) | instskip(SKIP_2) | instid1(VALU_DEP_1)
	v_add_f32_e32 v77, v0, v1
	v_sub_f32_e32 v0, v44, v48
	v_sub_f32_e32 v1, v52, v56
	v_add_f32_e32 v157, v0, v1
	v_sub_f32_e32 v0, v61, v57
	v_sub_f32_e32 v1, v69, v65
	s_delay_alu instid0(VALU_DEP_1) | instskip(NEXT) | instid1(VALU_DEP_1)
	v_dual_add_f32 v0, v0, v1 :: v_dual_sub_f32 v1, v62, v58
	v_dual_add_f32 v1, v1, v2 :: v_dual_sub_f32 v2, v47, v43
	s_delay_alu instid0(VALU_DEP_1) | instskip(NEXT) | instid1(VALU_DEP_1)
	v_dual_add_f32 v2, v2, v3 :: v_dual_sub_f32 v3, v48, v44
	v_dual_add_f32 v3, v3, v4 :: v_dual_add_f32 v4, v57, v65
	s_wait_dscnt 0x1
	s_delay_alu instid0(VALU_DEP_1) | instskip(NEXT) | instid1(VALU_DEP_1)
	v_fma_f32 v156, -0.5, v4, v12
	v_fmamk_f32 v28, v183, 0x3f737871, v156
	v_fmac_f32_e32 v156, 0xbf737871, v183
	s_delay_alu instid0(VALU_DEP_2) | instskip(NEXT) | instid1(VALU_DEP_2)
	v_fmac_f32_e32 v28, 0xbf167918, v102
	v_fmac_f32_e32 v156, 0x3f167918, v102
	s_delay_alu instid0(VALU_DEP_2) | instskip(NEXT) | instid1(VALU_DEP_2)
	v_fmac_f32_e32 v28, 0x3e9e377a, v0
	v_fmac_f32_e32 v156, 0x3e9e377a, v0
	v_add_f32_e32 v0, v58, v66
	s_delay_alu instid0(VALU_DEP_1) | instskip(SKIP_1) | instid1(VALU_DEP_2)
	v_fma_f32 v182, -0.5, v0, v13
	v_add_f32_e32 v0, v43, v51
	v_fmamk_f32 v186, v187, 0xbf737871, v182
	v_fmac_f32_e32 v182, 0x3f737871, v187
	s_wait_dscnt 0x0
	s_delay_alu instid0(VALU_DEP_3) | instskip(NEXT) | instid1(VALU_DEP_3)
	v_fma_f32 v0, -0.5, v0, v75
	v_fmac_f32_e32 v186, 0x3f167918, v189
	s_delay_alu instid0(VALU_DEP_3) | instskip(NEXT) | instid1(VALU_DEP_2)
	v_fmac_f32_e32 v182, 0xbf167918, v189
	v_fmac_f32_e32 v186, 0x3e9e377a, v1
	s_delay_alu instid0(VALU_DEP_2) | instskip(SKIP_2) | instid1(VALU_DEP_2)
	v_fmac_f32_e32 v182, 0x3e9e377a, v1
	v_fmamk_f32 v1, v188, 0x3f737871, v0
	v_fmac_f32_e32 v0, 0xbf737871, v188
	v_fmac_f32_e32 v1, 0xbf167918, v191
	s_delay_alu instid0(VALU_DEP_2) | instskip(NEXT) | instid1(VALU_DEP_2)
	v_fmac_f32_e32 v0, 0x3f167918, v191
	v_fmac_f32_e32 v1, 0x3e9e377a, v2
	s_delay_alu instid0(VALU_DEP_2) | instskip(SKIP_1) | instid1(VALU_DEP_1)
	v_fmac_f32_e32 v0, 0x3e9e377a, v2
	v_add_f32_e32 v2, v44, v52
	v_fma_f32 v2, -0.5, v2, v76
	s_delay_alu instid0(VALU_DEP_1) | instskip(SKIP_1) | instid1(VALU_DEP_2)
	v_fmamk_f32 v4, v190, 0xbf737871, v2
	v_fmac_f32_e32 v2, 0x3f737871, v190
	v_fmac_f32_e32 v4, 0x3f167918, v193
	s_delay_alu instid0(VALU_DEP_2) | instskip(NEXT) | instid1(VALU_DEP_2)
	v_fmac_f32_e32 v2, 0xbf167918, v193
	v_fmac_f32_e32 v4, 0x3e9e377a, v3
	s_delay_alu instid0(VALU_DEP_2) | instskip(NEXT) | instid1(VALU_DEP_2)
	v_dual_fmac_f32 v2, 0x3e9e377a, v3 :: v_dual_add_f32 v3, v48, v56
	v_mul_f32_e32 v196, 0xbf737871, v4
	v_mul_f32_e32 v199, 0x3e9e377a, v4
	s_delay_alu instid0(VALU_DEP_3) | instskip(NEXT) | instid1(VALU_DEP_4)
	v_fma_f32 v192, -0.5, v3, v76
	v_dual_add_f32 v3, v47, v55 :: v_dual_mul_f32 v198, 0xbf737871, v2
	v_dual_mul_f32 v201, 0xbe9e377a, v2 :: v_dual_add_f32 v2, v75, v43
	v_fmac_f32_e32 v196, 0x3e9e377a, v1
	s_delay_alu instid0(VALU_DEP_3)
	v_fma_f32 v195, -0.5, v3, v75
	v_fmamk_f32 v3, v193, 0x3f737871, v192
	v_fmac_f32_e32 v199, 0x3f737871, v1
	v_fmac_f32_e32 v198, 0xbe9e377a, v0
	;; [unrolled: 1-line block ×3, first 2 shown]
	v_fmamk_f32 v5, v191, 0xbf737871, v195
	v_dual_fmac_f32 v3, 0x3f167918, v190 :: v_dual_add_f32 v0, v12, v57
	v_dual_add_f32 v1, v61, v69 :: v_dual_add_f32 v2, v2, v47
	s_delay_alu instid0(VALU_DEP_3) | instskip(NEXT) | instid1(VALU_DEP_3)
	v_fmac_f32_e32 v5, 0xbf167918, v188
	v_fmac_f32_e32 v3, 0x3e9e377a, v157
	s_delay_alu instid0(VALU_DEP_4) | instskip(NEXT) | instid1(VALU_DEP_4)
	v_add_f32_e32 v0, v0, v61
	v_fma_f32 v12, -0.5, v1, v12
	v_add_f32_e32 v1, v13, v58
	v_fmac_f32_e32 v5, 0x3e9e377a, v77
	v_mul_f32_e32 v194, 0xbf167918, v3
	v_add_f32_e32 v2, v2, v55
	v_add_f32_e32 v4, v62, v70
	;; [unrolled: 1-line block ×3, first 2 shown]
	v_mul_f32_e32 v197, 0x3f167918, v5
	v_add_f32_e32 v0, v0, v69
	v_fmac_f32_e32 v192, 0xbf737871, v193
	v_fma_f32 v13, -0.5, v4, v13
	v_add_f32_e32 v1, v1, v70
	v_fmac_f32_e32 v197, 0x3f4f1bbd, v3
	v_dual_add_f32 v3, v76, v44 :: v_dual_fmamk_f32 v44, v102, 0xbf737871, v12
	s_delay_alu instid0(VALU_DEP_4) | instskip(SKIP_2) | instid1(VALU_DEP_4)
	v_fmamk_f32 v47, v189, 0x3f737871, v13
	v_fmac_f32_e32 v194, 0x3f4f1bbd, v5
	v_add_f32_e32 v43, v0, v65
	v_dual_add_f32 v3, v3, v48 :: v_dual_fmac_f32 v44, 0xbf167918, v183
	s_delay_alu instid0(VALU_DEP_4) | instskip(SKIP_1) | instid1(VALU_DEP_3)
	v_dual_fmac_f32 v47, 0x3f167918, v187 :: v_dual_add_f32 v48, v1, v66
	v_add_f32_e32 v51, v2, v51
	v_add_f32_e32 v3, v3, v56
	ds_load_2addr_stride64_b64 v[55:58], v149 offset0:8 offset1:10
	ds_load_2addr_stride64_b64 v[16:19], v149 offset0:20 offset1:22
	;; [unrolled: 1-line block ×5, first 2 shown]
	global_wb scope:SCOPE_SE
	s_wait_dscnt 0x0
	s_barrier_signal -1
	s_barrier_wait -1
	global_inv scope:SCOPE_SE
	scratch_load_b32 v61, off, off offset:256 th:TH_LOAD_LU ; 4-byte Folded Reload
	v_add_f32_e32 v52, v3, v52
	v_dual_fmac_f32 v44, 0x3e9e377a, v81 :: v_dual_fmac_f32 v47, 0x3e9e377a, v78
	v_fmac_f32_e32 v195, 0x3f737871, v191
	v_fmac_f32_e32 v192, 0xbf167918, v190
	s_delay_alu instid0(VALU_DEP_4) | instskip(NEXT) | instid1(VALU_DEP_4)
	v_dual_add_f32 v0, v43, v51 :: v_dual_add_f32 v1, v48, v52
	v_dual_add_f32 v2, v44, v194 :: v_dual_add_f32 v3, v47, v197
	v_fmac_f32_e32 v12, 0x3f737871, v102
	v_fmac_f32_e32 v13, 0xbf737871, v189
	;; [unrolled: 1-line block ×4, first 2 shown]
	v_add_f32_e32 v4, v28, v196
	v_dual_add_f32 v6, v156, v198 :: v_dual_add_f32 v5, v186, v199
	v_add_f32_e32 v7, v182, v201
	s_wait_loadcnt 0x0
	ds_store_b128 v61, v[0:3]
	ds_store_b128 v61, v[4:7] offset:16
	v_sub_f32_e32 v2, v43, v51
	v_sub_f32_e32 v6, v28, v196
	v_fmac_f32_e32 v12, 0x3f167918, v183
	v_fmac_f32_e32 v13, 0xbf167918, v187
	;; [unrolled: 1-line block ×3, first 2 shown]
	v_mul_f32_e32 v28, 0xbf167918, v192
	v_mul_f32_e32 v43, 0xbf4f1bbd, v192
	s_delay_alu instid0(VALU_DEP_4) | instskip(NEXT) | instid1(VALU_DEP_3)
	v_dual_fmac_f32 v12, 0x3e9e377a, v81 :: v_dual_fmac_f32 v13, 0x3e9e377a, v78
	v_dual_sub_f32 v3, v48, v52 :: v_dual_fmac_f32 v28, 0xbf4f1bbd, v195
	s_delay_alu instid0(VALU_DEP_3) | instskip(SKIP_1) | instid1(VALU_DEP_3)
	v_dual_fmac_f32 v43, 0x3f167918, v195 :: v_dual_sub_f32 v4, v44, v194
	v_sub_f32_e32 v5, v47, v197
	v_dual_sub_f32 v7, v186, v199 :: v_dual_add_f32 v0, v12, v28
	s_delay_alu instid0(VALU_DEP_3)
	v_add_f32_e32 v1, v13, v43
	ds_store_b128 v61, v[0:3] offset:32
	ds_store_b128 v61, v[4:7] offset:48
	v_sub_f32_e32 v0, v156, v198
	v_dual_sub_f32 v2, v12, v28 :: v_dual_sub_f32 v1, v182, v201
	v_dual_sub_f32 v3, v13, v43 :: v_dual_sub_f32 v6, v60, v64
	v_sub_f32_e32 v7, v64, v60
	v_dual_sub_f32 v28, v60, v68 :: v_dual_add_f32 v43, v59, v67
	ds_store_b128 v61, v[0:3] offset:64
	v_dual_add_f32 v0, v14, v59 :: v_dual_add_f32 v1, v15, v60
	v_add_f32_e32 v47, v60, v68
	v_sub_f32_e32 v12, v64, v72
	v_sub_f32_e32 v4, v63, v59
	s_delay_alu instid0(VALU_DEP_4) | instskip(SKIP_3) | instid1(VALU_DEP_4)
	v_dual_add_f32 v0, v0, v63 :: v_dual_add_f32 v1, v1, v64
	v_add_f32_e32 v5, v64, v72
	v_sub_f32_e32 v51, v71, v67
	v_fma_f32 v43, -0.5, v43, v14
	v_dual_add_f32 v0, v0, v71 :: v_dual_add_f32 v1, v1, v72
	v_add_f32_e32 v2, v63, v71
	v_sub_f32_e32 v3, v59, v63
	v_sub_f32_e32 v13, v63, v71
	s_delay_alu instid0(VALU_DEP_4) | instskip(SKIP_4) | instid1(VALU_DEP_3)
	v_dual_add_f32 v60, v0, v67 :: v_dual_add_f32 v61, v1, v68
	v_sub_f32_e32 v0, v16, v8
	v_dual_sub_f32 v1, v24, v20 :: v_dual_sub_f32 v44, v59, v67
	v_dual_sub_f32 v59, v72, v68 :: v_dual_sub_f32 v48, v67, v71
	v_sub_f32_e32 v64, v9, v21
	v_add_f32_e32 v62, v0, v1
	v_sub_f32_e32 v0, v17, v9
	s_delay_alu instid0(VALU_DEP_4) | instskip(SKIP_2) | instid1(VALU_DEP_3)
	v_dual_sub_f32 v1, v25, v21 :: v_dual_add_f32 v48, v3, v48
	v_sub_f32_e32 v3, v8, v16
	v_dual_sub_f32 v65, v17, v25 :: v_dual_sub_f32 v66, v8, v20
	v_add_f32_e32 v63, v0, v1
	v_add_f32_e32 v0, v4, v51
	v_fma_f32 v51, -0.5, v5, v15
	v_fmac_f32_e32 v15, -0.5, v47
	v_fmamk_f32 v47, v12, 0x3f737871, v43
	v_fmac_f32_e32 v43, 0xbf737871, v12
	v_dual_add_f32 v1, v7, v59 :: v_dual_sub_f32 v4, v20, v24
	s_delay_alu instid0(VALU_DEP_4) | instskip(NEXT) | instid1(VALU_DEP_4)
	v_fmamk_f32 v59, v13, 0xbf737871, v15
	v_fmac_f32_e32 v47, 0xbf167918, v28
	s_delay_alu instid0(VALU_DEP_4)
	v_fmac_f32_e32 v43, 0x3f167918, v28
	v_fmac_f32_e32 v15, 0x3f737871, v13
	v_add_f32_e32 v3, v3, v4
	v_fmac_f32_e32 v59, 0x3f167918, v44
	v_fmac_f32_e32 v47, 0x3e9e377a, v0
	;; [unrolled: 1-line block ×3, first 2 shown]
	v_add_f32_e32 v0, v16, v24
	v_fmac_f32_e32 v15, 0xbf167918, v44
	v_fmac_f32_e32 v59, 0x3e9e377a, v1
	v_sub_f32_e32 v4, v9, v17
	v_sub_f32_e32 v5, v21, v25
	v_fma_f32 v0, -0.5, v0, v55
	v_fmac_f32_e32 v15, 0x3e9e377a, v1
	v_sub_f32_e32 v67, v16, v24
	v_sub_f32_e32 v52, v68, v72
	v_add_f32_e32 v4, v4, v5
	v_fmamk_f32 v1, v64, 0x3f737871, v0
	v_fmac_f32_e32 v0, 0xbf737871, v64
	s_delay_alu instid0(VALU_DEP_2) | instskip(NEXT) | instid1(VALU_DEP_2)
	v_dual_add_f32 v52, v6, v52 :: v_dual_fmac_f32 v1, 0xbf167918, v65
	v_fmac_f32_e32 v0, 0x3f167918, v65
	s_delay_alu instid0(VALU_DEP_2) | instskip(NEXT) | instid1(VALU_DEP_2)
	v_fmac_f32_e32 v1, 0x3e9e377a, v3
	v_dual_fmac_f32 v0, 0x3e9e377a, v3 :: v_dual_add_f32 v3, v17, v25
	s_delay_alu instid0(VALU_DEP_1) | instskip(NEXT) | instid1(VALU_DEP_1)
	v_fma_f32 v3, -0.5, v3, v56
	v_fmamk_f32 v5, v66, 0xbf737871, v3
	v_fmac_f32_e32 v3, 0x3f737871, v66
	s_delay_alu instid0(VALU_DEP_2) | instskip(NEXT) | instid1(VALU_DEP_2)
	v_fmac_f32_e32 v5, 0x3f167918, v67
	v_fmac_f32_e32 v3, 0xbf167918, v67
	s_delay_alu instid0(VALU_DEP_2) | instskip(NEXT) | instid1(VALU_DEP_2)
	v_fmac_f32_e32 v5, 0x3e9e377a, v4
	v_dual_fmac_f32 v3, 0x3e9e377a, v4 :: v_dual_add_f32 v4, v9, v21
	s_delay_alu instid0(VALU_DEP_2) | instskip(NEXT) | instid1(VALU_DEP_2)
	v_mul_f32_e32 v72, 0xbf737871, v5
	v_mul_f32_e32 v76, 0xbf737871, v3
	;; [unrolled: 1-line block ×3, first 2 shown]
	s_delay_alu instid0(VALU_DEP_4) | instskip(SKIP_1) | instid1(VALU_DEP_4)
	v_fma_f32 v68, -0.5, v4, v56
	v_dual_add_f32 v4, v8, v20 :: v_dual_mul_f32 v75, 0x3e9e377a, v5
	v_fmac_f32_e32 v76, 0xbe9e377a, v0
	s_delay_alu instid0(VALU_DEP_4) | instskip(SKIP_1) | instid1(VALU_DEP_4)
	v_fmac_f32_e32 v77, 0x3f737871, v0
	v_add_f32_e32 v0, v55, v16
	v_fma_f32 v69, -0.5, v4, v55
	v_fmamk_f32 v4, v67, 0x3f737871, v68
	v_fmac_f32_e32 v72, 0x3e9e377a, v1
	s_delay_alu instid0(VALU_DEP_4) | instskip(NEXT) | instid1(VALU_DEP_4)
	v_dual_fmac_f32 v75, 0x3f737871, v1 :: v_dual_add_f32 v0, v0, v8
	v_fmamk_f32 v6, v65, 0xbf737871, v69
	s_delay_alu instid0(VALU_DEP_4) | instskip(SKIP_1) | instid1(VALU_DEP_4)
	v_dual_fmac_f32 v4, 0x3f167918, v66 :: v_dual_add_f32 v1, v56, v17
	v_fma_f32 v8, -0.5, v2, v14
	v_add_f32_e32 v0, v0, v20
	scratch_load_b32 v20, off, off offset:252 th:TH_LOAD_LU ; 4-byte Folded Reload
	v_fmac_f32_e32 v6, 0xbf167918, v64
	v_dual_fmac_f32 v4, 0x3e9e377a, v63 :: v_dual_add_f32 v1, v1, v9
	v_fmamk_f32 v9, v28, 0xbf737871, v8
	v_fmamk_f32 v14, v44, 0x3f737871, v51
	s_delay_alu instid0(VALU_DEP_4) | instskip(NEXT) | instid1(VALU_DEP_4)
	v_fmac_f32_e32 v6, 0x3e9e377a, v62
	v_dual_mul_f32 v70, 0xbf167918, v4 :: v_dual_add_f32 v1, v1, v21
	s_delay_alu instid0(VALU_DEP_4) | instskip(NEXT) | instid1(VALU_DEP_3)
	v_fmac_f32_e32 v9, 0xbf167918, v12
	v_dual_fmac_f32 v14, 0x3f167918, v13 :: v_dual_mul_f32 v71, 0x3f167918, v6
	v_fmac_f32_e32 v68, 0xbf737871, v67
	s_delay_alu instid0(VALU_DEP_4) | instskip(SKIP_1) | instid1(VALU_DEP_4)
	v_fmac_f32_e32 v70, 0x3f4f1bbd, v6
	v_dual_add_f32 v16, v0, v24 :: v_dual_add_f32 v17, v1, v25
	v_fmac_f32_e32 v71, 0x3f4f1bbd, v4
	v_fmac_f32_e32 v9, 0x3e9e377a, v48
	;; [unrolled: 1-line block ×5, first 2 shown]
	v_dual_add_f32 v0, v60, v16 :: v_dual_add_f32 v1, v61, v17
	s_delay_alu instid0(VALU_DEP_4)
	v_dual_add_f32 v2, v9, v70 :: v_dual_add_f32 v3, v14, v71
	v_fmac_f32_e32 v8, 0x3f737871, v28
	v_fmac_f32_e32 v51, 0xbf737871, v44
	v_fmac_f32_e32 v69, 0x3f167918, v64
	v_fmac_f32_e32 v68, 0x3e9e377a, v63
	v_add_f32_e32 v4, v47, v72
	v_add_f32_e32 v6, v43, v76
	;; [unrolled: 1-line block ×4, first 2 shown]
	s_wait_loadcnt 0x0
	ds_store_b128 v20, v[0:3]
	ds_store_b128 v20, v[4:7] offset:16
	v_sub_f32_e32 v4, v9, v70
	v_fmac_f32_e32 v8, 0x3f167918, v12
	v_fmac_f32_e32 v51, 0xbf167918, v13
	v_fmac_f32_e32 v69, 0x3e9e377a, v62
	v_mul_f32_e32 v9, 0xbf167918, v68
	v_mul_f32_e32 v12, 0xbf4f1bbd, v68
	v_fmac_f32_e32 v8, 0x3e9e377a, v48
	v_fmac_f32_e32 v51, 0x3e9e377a, v52
	s_delay_alu instid0(VALU_DEP_4) | instskip(NEXT) | instid1(VALU_DEP_4)
	v_dual_sub_f32 v2, v60, v16 :: v_dual_fmac_f32 v9, 0xbf4f1bbd, v69
	v_fmac_f32_e32 v12, 0x3f167918, v69
	v_dual_sub_f32 v3, v61, v17 :: v_dual_sub_f32 v6, v47, v72
	s_delay_alu instid0(VALU_DEP_3) | instskip(NEXT) | instid1(VALU_DEP_3)
	v_dual_sub_f32 v5, v14, v71 :: v_dual_add_f32 v0, v8, v9
	v_add_f32_e32 v1, v51, v12
	v_sub_f32_e32 v7, v59, v75
	ds_store_b128 v20, v[0:3] offset:32
	ds_store_b128 v20, v[4:7] offset:48
	v_sub_f32_e32 v3, v51, v12
	scratch_load_b32 v51, off, off offset:248 th:TH_LOAD_LU ; 4-byte Folded Reload
	v_sub_f32_e32 v1, v15, v77
	v_sub_f32_e32 v0, v43, v76
	;; [unrolled: 1-line block ×4, first 2 shown]
	v_dual_sub_f32 v4, v45, v41 :: v_dual_add_f32 v5, v46, v54
	v_sub_f32_e32 v9, v45, v53
	ds_store_b128 v20, v[0:3] offset:64
	v_dual_add_f32 v1, v74, v42 :: v_dual_add_f32 v0, v73, v41
	v_add_f32_e32 v2, v45, v53
	v_dual_sub_f32 v3, v41, v45 :: v_dual_sub_f32 v6, v42, v46
	s_delay_alu instid0(VALU_DEP_3) | instskip(SKIP_3) | instid1(VALU_DEP_4)
	v_dual_add_f32 v1, v1, v46 :: v_dual_add_f32 v0, v0, v45
	v_sub_f32_e32 v7, v46, v42
	v_add_f32_e32 v13, v41, v49
	v_sub_f32_e32 v14, v41, v49
	v_dual_add_f32 v1, v1, v54 :: v_dual_add_f32 v0, v0, v53
	v_sub_f32_e32 v41, v11, v23
	v_add_f32_e32 v44, v11, v23
	v_sub_f32_e32 v45, v19, v11
	s_delay_alu instid0(VALU_DEP_4) | instskip(SKIP_3) | instid1(VALU_DEP_3)
	v_add_f32_e32 v25, v1, v50
	v_dual_add_f32 v1, v58, v19 :: v_dual_add_f32 v24, v0, v49
	v_add_f32_e32 v0, v57, v18
	v_sub_f32_e32 v46, v19, v27
	v_dual_sub_f32 v12, v42, v50 :: v_dual_add_f32 v1, v1, v11
	v_sub_f32_e32 v11, v11, v19
	v_add_f32_e32 v19, v19, v27
	v_add_f32_e32 v15, v42, v50
	v_add_f32_e32 v0, v0, v10
	v_add_f32_e32 v28, v10, v22
	v_sub_f32_e32 v42, v18, v10
	v_sub_f32_e32 v43, v10, v18
	v_dual_sub_f32 v10, v10, v22 :: v_dual_add_f32 v1, v1, v23
	v_fma_f32 v44, -0.5, v44, v58
	v_fmac_f32_e32 v58, -0.5, v19
	v_sub_f32_e32 v16, v49, v53
	v_sub_f32_e32 v17, v53, v49
	v_add_f32_e32 v47, v18, v26
	v_sub_f32_e32 v18, v18, v26
	v_dual_add_f32 v0, v0, v22 :: v_dual_sub_f32 v49, v27, v23
	v_sub_f32_e32 v23, v23, v27
	v_add_f32_e32 v27, v1, v27
	v_fmamk_f32 v1, v10, 0xbf737871, v58
	v_fmac_f32_e32 v58, 0x3f737871, v10
	v_sub_f32_e32 v21, v54, v50
	v_sub_f32_e32 v48, v26, v22
	;; [unrolled: 1-line block ×3, first 2 shown]
	v_add_f32_e32 v26, v0, v26
	v_add_f32_e32 v0, v11, v23
	v_fmac_f32_e32 v58, 0xbf167918, v18
	v_fma_f32 v19, -0.5, v47, v57
	v_dual_add_f32 v16, v3, v16 :: v_dual_add_f32 v3, v4, v17
	v_fma_f32 v17, -0.5, v5, v74
	v_fmac_f32_e32 v74, -0.5, v15
	v_fma_f32 v13, -0.5, v13, v73
	v_fmac_f32_e32 v1, 0x3f167918, v18
	v_fmac_f32_e32 v58, 0x3e9e377a, v0
	s_delay_alu instid0(VALU_DEP_4) | instskip(NEXT) | instid1(VALU_DEP_4)
	v_dual_add_f32 v4, v7, v21 :: v_dual_fmamk_f32 v21, v9, 0xbf737871, v74
	v_fmamk_f32 v15, v8, 0x3f737871, v13
	v_fmac_f32_e32 v13, 0xbf737871, v8
	v_fmac_f32_e32 v74, 0x3f737871, v9
	;; [unrolled: 1-line block ×3, first 2 shown]
	v_fmamk_f32 v0, v41, 0x3f737871, v19
	v_fmac_f32_e32 v19, 0xbf737871, v41
	v_fma_f32 v11, -0.5, v28, v57
	v_add_f32_e32 v5, v43, v22
	v_fmac_f32_e32 v15, 0xbf167918, v12
	v_fmac_f32_e32 v13, 0x3f167918, v12
	;; [unrolled: 1-line block ×5, first 2 shown]
	v_mul_f32_e32 v23, 0xbf737871, v58
	v_mul_f32_e32 v28, 0xbe9e377a, v58
	v_fmac_f32_e32 v15, 0x3e9e377a, v3
	v_fmac_f32_e32 v13, 0x3e9e377a, v3
	v_fmac_f32_e32 v21, 0x3e9e377a, v4
	v_dual_fmac_f32 v74, 0x3e9e377a, v4 :: v_dual_fmac_f32 v19, 0x3e9e377a, v5
	v_fmamk_f32 v3, v18, 0x3f737871, v44
	v_fmamk_f32 v4, v46, 0xbf737871, v11
	v_dual_add_f32 v42, v42, v48 :: v_dual_add_f32 v45, v45, v49
	s_delay_alu instid0(VALU_DEP_4) | instskip(NEXT) | instid1(VALU_DEP_4)
	v_fmac_f32_e32 v23, 0xbe9e377a, v19
	v_fmac_f32_e32 v3, 0x3f167918, v10
	s_delay_alu instid0(VALU_DEP_4)
	v_fmac_f32_e32 v4, 0xbf167918, v41
	v_fmac_f32_e32 v28, 0x3f737871, v19
	v_fma_f32 v19, -0.5, v2, v73
	v_fmac_f32_e32 v44, 0xbf737871, v18
	v_dual_sub_f32 v20, v50, v54 :: v_dual_fmac_f32 v3, 0x3e9e377a, v45
	v_fmac_f32_e32 v4, 0x3e9e377a, v42
	s_delay_alu instid0(VALU_DEP_4)
	v_fmamk_f32 v49, v12, 0xbf737871, v19
	v_fmamk_f32 v50, v14, 0x3f737871, v17
	v_fmac_f32_e32 v11, 0x3f737871, v46
	v_fmac_f32_e32 v44, 0xbf167918, v10
	;; [unrolled: 1-line block ×3, first 2 shown]
	v_add_f32_e32 v20, v6, v20
	v_mul_f32_e32 v22, 0xbf167918, v3
	v_mul_f32_e32 v43, 0x3f167918, v4
	v_fmac_f32_e32 v49, 0xbf167918, v8
	v_fmac_f32_e32 v50, 0x3f167918, v9
	;; [unrolled: 1-line block ×7, first 2 shown]
	v_mul_f32_e32 v47, 0xbf737871, v1
	v_mul_f32_e32 v48, 0x3e9e377a, v1
	v_dual_fmac_f32 v22, 0x3f4f1bbd, v4 :: v_dual_fmac_f32 v43, 0x3f4f1bbd, v3
	v_fmac_f32_e32 v49, 0x3e9e377a, v16
	v_fmac_f32_e32 v50, 0x3e9e377a, v20
	;; [unrolled: 1-line block ×5, first 2 shown]
	v_mul_f32_e32 v8, 0xbf167918, v44
	v_mul_f32_e32 v9, 0xbf4f1bbd, v44
	v_fmac_f32_e32 v47, 0x3e9e377a, v0
	v_fmac_f32_e32 v48, 0x3f737871, v0
	v_dual_add_f32 v0, v24, v26 :: v_dual_add_f32 v1, v25, v27
	v_dual_add_f32 v2, v49, v22 :: v_dual_add_f32 v3, v50, v43
	v_fmac_f32_e32 v19, 0x3e9e377a, v16
	v_fmac_f32_e32 v17, 0x3e9e377a, v20
	;; [unrolled: 1-line block ×4, first 2 shown]
	v_add_f32_e32 v4, v15, v47
	v_add_f32_e32 v6, v13, v23
	;; [unrolled: 1-line block ×4, first 2 shown]
	s_wait_loadcnt 0x0
	ds_store_b128 v51, v[0:3]
	ds_store_b128 v51, v[4:7] offset:16
	v_dual_sub_f32 v2, v24, v26 :: v_dual_sub_f32 v3, v25, v27
	v_dual_add_f32 v0, v19, v8 :: v_dual_add_f32 v1, v17, v9
	v_sub_f32_e32 v4, v49, v22
	v_sub_f32_e32 v6, v15, v47
	;; [unrolled: 1-line block ×4, first 2 shown]
	ds_store_b128 v51, v[0:3] offset:32
	ds_store_b128 v51, v[4:7] offset:48
	v_dual_sub_f32 v1, v74, v28 :: v_dual_sub_f32 v0, v13, v23
	v_dual_sub_f32 v2, v19, v8 :: v_dual_sub_f32 v3, v17, v9
	ds_store_b128 v51, v[0:3] offset:64
	global_wb scope:SCOPE_SE
	s_wait_dscnt 0x0
	s_barrier_signal -1
	s_barrier_wait -1
	global_inv scope:SCOPE_SE
	scratch_load_b64 v[4:5], off, off offset:268 th:TH_LOAD_LU ; 8-byte Folded Reload
	ds_load_2addr_stride64_b64 v[0:3], v149 offset0:52 offset1:54
	s_wait_loadcnt_dscnt 0x0
	v_mul_f32_e32 v48, v5, v1
	s_delay_alu instid0(VALU_DEP_1) | instskip(SKIP_1) | instid1(VALU_DEP_1)
	v_fmac_f32_e32 v48, v4, v0
	v_mul_f32_e32 v0, v5, v0
	v_fma_f32 v49, v4, v1, -v0
	scratch_load_b64 v[4:5], off, off offset:260 th:TH_LOAD_LU ; 8-byte Folded Reload
	s_wait_loadcnt 0x0
	v_mul_f32_e32 v46, v5, v3
	v_mul_f32_e32 v0, v5, v2
	s_delay_alu instid0(VALU_DEP_2) | instskip(NEXT) | instid1(VALU_DEP_2)
	v_fmac_f32_e32 v46, v4, v2
	v_fma_f32 v47, v4, v3, -v0
	scratch_load_b64 v[4:5], off, off offset:292 th:TH_LOAD_LU ; 8-byte Folded Reload
	ds_load_2addr_stride64_b64 v[0:3], v149 offset0:56 offset1:58
	s_wait_loadcnt_dscnt 0x0
	v_mul_f32_e32 v44, v5, v1
	s_delay_alu instid0(VALU_DEP_1) | instskip(SKIP_1) | instid1(VALU_DEP_1)
	v_fmac_f32_e32 v44, v4, v0
	v_mul_f32_e32 v0, v5, v0
	v_fma_f32 v45, v4, v1, -v0
	scratch_load_b64 v[4:5], off, off offset:284 th:TH_LOAD_LU ; 8-byte Folded Reload
	s_wait_loadcnt 0x0
	v_mul_f32_e32 v41, v5, v3
	v_mul_f32_e32 v0, v5, v2
	s_delay_alu instid0(VALU_DEP_2) | instskip(NEXT) | instid1(VALU_DEP_2)
	v_fmac_f32_e32 v41, v4, v2
	v_fma_f32 v42, v4, v3, -v0
	scratch_load_b64 v[4:5], off, off offset:276 th:TH_LOAD_LU ; 8-byte Folded Reload
	ds_load_2addr_stride64_b64 v[0:3], v149 offset0:48 offset1:50
	s_wait_dscnt 0x0
	v_mul_f32_e32 v43, v40, v1
	s_delay_alu instid0(VALU_DEP_1) | instskip(SKIP_1) | instid1(VALU_DEP_1)
	v_fmac_f32_e32 v43, v39, v0
	v_mul_f32_e32 v0, v40, v0
	v_fma_f32 v40, v39, v1, -v0
	s_wait_loadcnt 0x0
	v_mul_f32_e32 v13, v5, v3
	s_delay_alu instid0(VALU_DEP_1) | instskip(SKIP_1) | instid1(VALU_DEP_1)
	v_fmac_f32_e32 v13, v4, v2
	v_mul_f32_e32 v2, v5, v2
	v_fma_f32 v14, v4, v3, -v2
	ds_load_2addr_stride64_b64 v[0:3], v149 offset0:36 offset1:38
	s_wait_dscnt 0x0
	v_mul_f32_e32 v39, v38, v3
	s_delay_alu instid0(VALU_DEP_1) | instskip(SKIP_2) | instid1(VALU_DEP_2)
	v_fmac_f32_e32 v39, v37, v2
	v_mul_f32_e32 v2, v38, v2
	v_mul_f32_e32 v38, v34, v1
	v_fma_f32 v37, v37, v3, -v2
	s_delay_alu instid0(VALU_DEP_2) | instskip(SKIP_1) | instid1(VALU_DEP_1)
	v_fmac_f32_e32 v38, v33, v0
	v_mul_f32_e32 v0, v34, v0
	v_fma_f32 v33, v33, v1, -v0
	ds_load_2addr_stride64_b64 v[0:3], v149 offset0:44 offset1:46
	s_wait_dscnt 0x0
	v_mul_f32_e32 v34, v36, v3
	v_mul_f32_e32 v20, v106, v1
	s_delay_alu instid0(VALU_DEP_2) | instskip(SKIP_1) | instid1(VALU_DEP_3)
	v_fmac_f32_e32 v34, v35, v2
	v_mul_f32_e32 v2, v36, v2
	v_fmac_f32_e32 v20, v105, v0
	v_mul_f32_e32 v0, v106, v0
	s_delay_alu instid0(VALU_DEP_3) | instskip(NEXT) | instid1(VALU_DEP_2)
	v_fma_f32 v35, v35, v3, -v2
	v_fma_f32 v21, v105, v1, -v0
	ds_load_2addr_stride64_b64 v[0:3], v149 offset0:32 offset1:34
	s_wait_dscnt 0x0
	v_mul_f32_e32 v22, v104, v3
	v_mul_f32_e32 v24, v112, v1
	s_delay_alu instid0(VALU_DEP_2) | instskip(SKIP_1) | instid1(VALU_DEP_3)
	v_fmac_f32_e32 v22, v103, v2
	v_mul_f32_e32 v2, v104, v2
	v_fmac_f32_e32 v24, v111, v0
	v_mul_f32_e32 v0, v112, v0
	s_delay_alu instid0(VALU_DEP_3) | instskip(NEXT) | instid1(VALU_DEP_2)
	v_fma_f32 v23, v103, v3, -v2
	v_fma_f32 v25, v111, v1, -v0
	ds_load_2addr_stride64_b64 v[0:3], v149 offset0:40 offset1:42
	s_wait_dscnt 0x0
	v_mul_f32_e32 v26, v114, v3
	s_delay_alu instid0(VALU_DEP_1) | instskip(NEXT) | instid1(VALU_DEP_1)
	v_dual_mul_f32 v15, v122, v1 :: v_dual_fmac_f32 v26, v113, v2
	v_dual_mul_f32 v2, v114, v2 :: v_dual_fmac_f32 v15, v121, v0
	v_mul_f32_e32 v0, v122, v0
	s_delay_alu instid0(VALU_DEP_2) | instskip(NEXT) | instid1(VALU_DEP_2)
	v_fma_f32 v27, v113, v3, -v2
	v_fma_f32 v16, v121, v1, -v0
	ds_load_2addr_stride64_b64 v[0:3], v149 offset0:28 offset1:30
	s_wait_dscnt 0x0
	v_mul_f32_e32 v28, v120, v3
	s_delay_alu instid0(VALU_DEP_1) | instskip(NEXT) | instid1(VALU_DEP_1)
	v_dual_mul_f32 v11, v32, v1 :: v_dual_fmac_f32 v28, v119, v2
	v_dual_mul_f32 v2, v120, v2 :: v_dual_fmac_f32 v11, v31, v0
	v_mul_f32_e32 v0, v32, v0
	s_delay_alu instid0(VALU_DEP_3) | instskip(NEXT) | instid1(VALU_DEP_3)
	v_add_f32_e32 v60, v28, v13
	v_fma_f32 v36, v119, v3, -v2
	s_delay_alu instid0(VALU_DEP_3) | instskip(SKIP_4) | instid1(VALU_DEP_2)
	v_fma_f32 v12, v31, v1, -v0
	ds_load_2addr_stride64_b64 v[0:3], v149 offset0:16 offset1:18
	s_wait_dscnt 0x0
	v_mul_f32_e32 v9, v30, v3
	v_mul_f32_e32 v17, v108, v1
	v_fmac_f32_e32 v9, v29, v2
	s_delay_alu instid0(VALU_DEP_2) | instskip(SKIP_1) | instid1(VALU_DEP_2)
	v_dual_mul_f32 v2, v30, v2 :: v_dual_fmac_f32 v17, v107, v0
	v_mul_f32_e32 v0, v108, v0
	v_fma_f32 v10, v29, v3, -v2
	s_delay_alu instid0(VALU_DEP_2) | instskip(SKIP_3) | instid1(VALU_DEP_1)
	v_fma_f32 v18, v107, v1, -v0
	ds_load_2addr_stride64_b64 v[0:3], v149 offset0:24 offset1:26
	s_wait_dscnt 0x0
	v_mul_f32_e32 v19, v110, v3
	v_dual_mul_f32 v30, v118, v1 :: v_dual_fmac_f32 v19, v109, v2
	v_mul_f32_e32 v2, v110, v2
	s_delay_alu instid0(VALU_DEP_2) | instskip(SKIP_1) | instid1(VALU_DEP_3)
	v_fmac_f32_e32 v30, v117, v0
	v_mul_f32_e32 v0, v118, v0
	v_fma_f32 v29, v109, v3, -v2
	s_delay_alu instid0(VALU_DEP_2) | instskip(SKIP_3) | instid1(VALU_DEP_1)
	v_fma_f32 v31, v117, v1, -v0
	ds_load_2addr_stride64_b64 v[0:3], v149 offset0:12 offset1:14
	s_wait_dscnt 0x0
	v_mul_f32_e32 v32, v116, v3
	v_dual_mul_f32 v51, v124, v1 :: v_dual_fmac_f32 v32, v115, v2
	s_delay_alu instid0(VALU_DEP_1) | instskip(SKIP_1) | instid1(VALU_DEP_2)
	v_dual_mul_f32 v2, v116, v2 :: v_dual_fmac_f32 v51, v123, v0
	v_mul_f32_e32 v0, v124, v0
	v_fma_f32 v50, v115, v3, -v2
	s_delay_alu instid0(VALU_DEP_2) | instskip(SKIP_3) | instid1(VALU_DEP_1)
	v_fma_f32 v52, v123, v1, -v0
	ds_load_2addr_stride64_b64 v[0:3], v149 offset0:20 offset1:22
	s_wait_dscnt 0x0
	v_mul_f32_e32 v53, v126, v3
	v_dual_mul_f32 v54, v130, v1 :: v_dual_fmac_f32 v53, v125, v2
	v_mul_f32_e32 v2, v126, v2
	s_delay_alu instid0(VALU_DEP_2) | instskip(SKIP_1) | instid1(VALU_DEP_3)
	v_fmac_f32_e32 v54, v129, v0
	v_mul_f32_e32 v0, v130, v0
	v_fma_f32 v2, v125, v3, -v2
	ds_load_2addr_stride64_b64 v[3:6], v149 offset0:8 offset1:10
	v_fma_f32 v0, v129, v1, -v0
	s_delay_alu instid0(VALU_DEP_1) | instskip(SKIP_3) | instid1(VALU_DEP_2)
	v_sub_f32_e32 v58, v0, v16
	s_wait_dscnt 0x0
	v_mul_f32_e32 v55, v128, v6
	v_mul_f32_e32 v1, v128, v5
	v_fmac_f32_e32 v55, v127, v5
	s_delay_alu instid0(VALU_DEP_2) | instskip(SKIP_4) | instid1(VALU_DEP_2)
	v_fma_f32 v56, v127, v6, -v1
	ds_load_2addr_stride64_b64 v[5:8], v149 offset1:2
	s_wait_dscnt 0x0
	v_add_f32_e32 v1, v6, v0
	v_add_f32_e32 v0, v0, v16
	;; [unrolled: 1-line block ×3, first 2 shown]
	v_dual_add_f32 v1, v5, v54 :: v_dual_add_f32 v16, v56, v36
	s_delay_alu instid0(VALU_DEP_3) | instskip(NEXT) | instid1(VALU_DEP_2)
	v_fma_f32 v65, -0.5, v0, v6
	v_add_f32_e32 v59, v1, v15
	v_add_f32_e32 v1, v54, v15
	v_dual_sub_f32 v54, v54, v15 :: v_dual_add_f32 v15, v36, v14
	v_sub_f32_e32 v36, v36, v14
	s_delay_alu instid0(VALU_DEP_3) | instskip(NEXT) | instid1(VALU_DEP_3)
	v_fma_f32 v64, -0.5, v1, v5
	v_dual_fmamk_f32 v67, v54, 0x3f5db3d7, v65 :: v_dual_fmac_f32 v56, -0.5, v15
	v_dual_add_f32 v15, v55, v28 :: v_dual_sub_f32 v28, v28, v13
	v_dual_fmac_f32 v55, -0.5, v60 :: v_dual_add_f32 v60, v16, v14
	s_delay_alu instid0(VALU_DEP_2) | instskip(NEXT) | instid1(VALU_DEP_3)
	v_dual_fmamk_f32 v66, v58, 0xbf5db3d7, v64 :: v_dual_add_f32 v61, v15, v13
	v_fmamk_f32 v13, v28, 0x3f5db3d7, v56
	v_fmac_f32_e32 v56, 0xbf5db3d7, v28
	s_delay_alu instid0(VALU_DEP_4) | instskip(NEXT) | instid1(VALU_DEP_4)
	v_dual_add_f32 v1, v57, v60 :: v_dual_fmac_f32 v64, 0x3f5db3d7, v58
	v_add_f32_e32 v0, v59, v61
	s_delay_alu instid0(VALU_DEP_4)
	v_mul_f32_e32 v62, 0xbf5db3d7, v13
	v_mul_f32_e32 v63, 0.5, v13
	v_fmamk_f32 v13, v36, 0xbf5db3d7, v55
	v_fmac_f32_e32 v55, 0x3f5db3d7, v36
	v_mul_f32_e32 v28, 0xbf5db3d7, v56
	v_dual_mul_f32 v36, -0.5, v56 :: v_dual_fmac_f32 v65, 0xbf5db3d7, v54
	s_delay_alu instid0(VALU_DEP_4)
	v_fmac_f32_e32 v62, 0.5, v13
	v_fmac_f32_e32 v63, 0x3f5db3d7, v13
	ds_load_2addr_stride64_b64 v[13:16], v149 offset0:4 offset1:6
	global_wb scope:SCOPE_SE
	s_wait_dscnt 0x0
	s_barrier_signal -1
	s_barrier_wait -1
	global_inv scope:SCOPE_SE
	s_clause 0x1
	scratch_load_b32 v68, off, off offset:308 th:TH_LOAD_LU
	scratch_load_b32 v56, off, off offset:316 th:TH_LOAD_LU
	v_dual_add_f32 v5, v66, v62 :: v_dual_add_f32 v6, v67, v63
	v_fmac_f32_e32 v28, -0.5, v55
	v_fmac_f32_e32 v36, 0x3f5db3d7, v55
	s_wait_loadcnt 0x1
	ds_store_2addr_b64 v68, v[0:1], v[5:6] offset1:10
	v_dual_sub_f32 v0, v59, v61 :: v_dual_sub_f32 v1, v57, v60
	v_add_f32_e32 v5, v64, v28
	v_add_f32_e32 v6, v65, v36
	ds_store_2addr_b64 v68, v[5:6], v[0:1] offset0:20 offset1:30
	v_dual_sub_f32 v0, v66, v62 :: v_dual_sub_f32 v1, v67, v63
	v_sub_f32_e32 v5, v64, v28
	v_sub_f32_e32 v6, v65, v36
	ds_store_2addr_b64 v68, v[0:1], v[5:6] offset0:40 offset1:50
	v_dual_add_f32 v1, v2, v27 :: v_dual_add_f32 v0, v8, v2
	v_dual_sub_f32 v2, v2, v27 :: v_dual_add_f32 v5, v52, v25
	v_add_f32_e32 v6, v24, v48
	s_delay_alu instid0(VALU_DEP_3) | instskip(SKIP_3) | instid1(VALU_DEP_3)
	v_fmac_f32_e32 v8, -0.5, v1
	v_add_f32_e32 v1, v25, v49
	v_dual_add_f32 v27, v0, v27 :: v_dual_add_f32 v0, v7, v53
	v_sub_f32_e32 v25, v25, v49
	v_dual_fmac_f32 v52, -0.5, v1 :: v_dual_add_f32 v1, v51, v24
	v_sub_f32_e32 v24, v24, v48
	s_delay_alu instid0(VALU_DEP_4) | instskip(SKIP_1) | instid1(VALU_DEP_4)
	v_add_f32_e32 v28, v0, v26
	v_add_f32_e32 v0, v53, v26
	v_dual_fmac_f32 v51, -0.5, v6 :: v_dual_add_f32 v36, v1, v48
	s_delay_alu instid0(VALU_DEP_4) | instskip(SKIP_1) | instid1(VALU_DEP_4)
	v_dual_fmamk_f32 v1, v24, 0x3f5db3d7, v52 :: v_dual_sub_f32 v26, v53, v26
	v_add_f32_e32 v48, v5, v49
	v_fma_f32 v7, -0.5, v0, v7
	s_delay_alu instid0(VALU_DEP_3) | instskip(SKIP_2) | instid1(VALU_DEP_4)
	v_dual_fmac_f32 v52, 0xbf5db3d7, v24 :: v_dual_mul_f32 v49, 0xbf5db3d7, v1
	v_mul_f32_e32 v53, 0.5, v1
	v_fmamk_f32 v1, v25, 0xbf5db3d7, v51
	v_fmamk_f32 v54, v2, 0xbf5db3d7, v7
	;; [unrolled: 1-line block ×3, first 2 shown]
	v_fmac_f32_e32 v7, 0x3f5db3d7, v2
	v_fmac_f32_e32 v51, 0x3f5db3d7, v25
	v_fmac_f32_e32 v49, 0.5, v1
	v_fmac_f32_e32 v53, 0x3f5db3d7, v1
	v_mul_f32_e32 v2, 0xbf5db3d7, v52
	v_mul_f32_e32 v24, -0.5, v52
	v_add_f32_e32 v0, v28, v36
	v_add_f32_e32 v1, v27, v48
	;; [unrolled: 1-line block ×4, first 2 shown]
	v_fmac_f32_e32 v8, 0xbf5db3d7, v26
	v_fmac_f32_e32 v2, -0.5, v51
	v_fmac_f32_e32 v24, 0x3f5db3d7, v51
	s_wait_loadcnt 0x0
	ds_store_2addr_b64 v56, v[0:1], v[5:6] offset1:10
	v_sub_f32_e32 v0, v28, v36
	v_sub_f32_e32 v1, v27, v48
	v_dual_add_f32 v5, v7, v2 :: v_dual_add_f32 v6, v8, v24
	ds_store_2addr_b64 v56, v[5:6], v[0:1] offset0:20 offset1:30
	v_dual_sub_f32 v1, v8, v24 :: v_dual_sub_f32 v0, v7, v2
	v_sub_f32_e32 v5, v54, v49
	v_sub_f32_e32 v6, v55, v53
	v_sub_f32_e32 v7, v31, v21
	ds_store_2addr_b64 v56, v[5:6], v[0:1] offset0:40 offset1:50
	v_dual_add_f32 v1, v13, v30 :: v_dual_add_f32 v0, v14, v31
	v_add_f32_e32 v5, v23, v47
	v_add_f32_e32 v6, v50, v23
	s_delay_alu instid0(VALU_DEP_3)
	v_add_f32_e32 v8, v1, v20
	v_add_f32_e32 v1, v30, v20
	v_sub_f32_e32 v20, v30, v20
	scratch_load_b32 v30, off, off offset:312 th:TH_LOAD_LU ; 4-byte Folded Reload
	v_add_f32_e32 v2, v0, v21
	v_add_f32_e32 v0, v31, v21
	v_dual_fmac_f32 v50, -0.5, v5 :: v_dual_add_f32 v5, v32, v22
	v_add_f32_e32 v21, v22, v46
	v_sub_f32_e32 v22, v22, v46
	v_fma_f32 v13, -0.5, v1, v13
	v_fma_f32 v14, -0.5, v0, v14
	v_add_f32_e32 v24, v5, v46
	v_dual_fmac_f32 v32, -0.5, v21 :: v_dual_sub_f32 v21, v23, v47
	v_fmamk_f32 v5, v22, 0x3f5db3d7, v50
	v_add_f32_e32 v23, v6, v47
	v_fmamk_f32 v27, v7, 0xbf5db3d7, v13
	v_fmamk_f32 v28, v20, 0x3f5db3d7, v14
	s_delay_alu instid0(VALU_DEP_4) | instskip(SKIP_3) | instid1(VALU_DEP_3)
	v_dual_add_f32 v0, v8, v24 :: v_dual_mul_f32 v25, 0xbf5db3d7, v5
	v_dual_mul_f32 v26, 0.5, v5 :: v_dual_fmamk_f32 v5, v21, 0xbf5db3d7, v32
	v_dual_add_f32 v1, v2, v23 :: v_dual_fmac_f32 v50, 0xbf5db3d7, v22
	v_dual_fmac_f32 v13, 0x3f5db3d7, v7 :: v_dual_fmac_f32 v32, 0x3f5db3d7, v21
	v_fmac_f32_e32 v25, 0.5, v5
	s_delay_alu instid0(VALU_DEP_3) | instskip(SKIP_2) | instid1(VALU_DEP_3)
	v_dual_fmac_f32 v26, 0x3f5db3d7, v5 :: v_dual_mul_f32 v7, -0.5, v50
	v_fmac_f32_e32 v14, 0xbf5db3d7, v20
	v_sub_f32_e32 v20, v33, v45
	v_dual_add_f32 v5, v27, v25 :: v_dual_add_f32 v6, v28, v26
	s_delay_alu instid0(VALU_DEP_4)
	v_fmac_f32_e32 v7, 0x3f5db3d7, v32
	s_wait_loadcnt 0x0
	ds_store_2addr_b64 v30, v[0:1], v[5:6] offset1:10
	v_dual_sub_f32 v1, v2, v23 :: v_dual_mul_f32 v2, 0xbf5db3d7, v50
	v_sub_f32_e32 v0, v8, v24
	v_add_f32_e32 v6, v14, v7
	s_delay_alu instid0(VALU_DEP_3) | instskip(NEXT) | instid1(VALU_DEP_1)
	v_fmac_f32_e32 v2, -0.5, v32
	v_add_f32_e32 v5, v13, v2
	ds_store_2addr_b64 v30, v[5:6], v[0:1] offset0:20 offset1:30
	v_sub_f32_e32 v1, v28, v26
	scratch_load_b32 v26, off, off offset:300 th:TH_LOAD_LU ; 4-byte Folded Reload
	v_dual_sub_f32 v0, v27, v25 :: v_dual_sub_f32 v5, v13, v2
	v_sub_f32_e32 v6, v14, v7
	v_dual_sub_f32 v14, v38, v44 :: v_dual_sub_f32 v13, v19, v34
	v_sub_f32_e32 v2, v29, v35
	ds_store_2addr_b64 v30, v[0:1], v[5:6] offset0:40 offset1:50
	v_dual_add_f32 v1, v29, v35 :: v_dual_add_f32 v0, v16, v29
	v_add_f32_e32 v5, v18, v33
	v_add_f32_e32 v6, v38, v44
	s_delay_alu instid0(VALU_DEP_3) | instskip(SKIP_3) | instid1(VALU_DEP_4)
	v_fmac_f32_e32 v16, -0.5, v1
	v_add_f32_e32 v1, v33, v45
	v_add_f32_e32 v7, v0, v35
	v_dual_add_f32 v0, v15, v19 :: v_dual_add_f32 v21, v5, v45
	v_fmamk_f32 v25, v13, 0x3f5db3d7, v16
	s_delay_alu instid0(VALU_DEP_4) | instskip(NEXT) | instid1(VALU_DEP_3)
	v_dual_fmac_f32 v18, -0.5, v1 :: v_dual_add_f32 v1, v17, v38
	v_add_f32_e32 v8, v0, v34
	v_add_f32_e32 v0, v19, v34
	v_dual_fmac_f32 v17, -0.5, v6 :: v_dual_fmac_f32 v16, 0xbf5db3d7, v13
	s_delay_alu instid0(VALU_DEP_4) | instskip(SKIP_1) | instid1(VALU_DEP_4)
	v_add_f32_e32 v19, v1, v44
	v_fmamk_f32 v1, v14, 0x3f5db3d7, v18
	v_fma_f32 v15, -0.5, v0, v15
	v_fmac_f32_e32 v18, 0xbf5db3d7, v14
	s_delay_alu instid0(VALU_DEP_4) | instskip(NEXT) | instid1(VALU_DEP_4)
	v_add_f32_e32 v0, v8, v19
	v_mul_f32_e32 v22, 0xbf5db3d7, v1
	v_mul_f32_e32 v23, 0.5, v1
	v_fmamk_f32 v1, v20, 0xbf5db3d7, v17
	v_fmac_f32_e32 v17, 0x3f5db3d7, v20
	scratch_load_b32 v20, off, off offset:304 th:TH_LOAD_LU ; 4-byte Folded Reload
	v_fmamk_f32 v24, v2, 0xbf5db3d7, v15
	v_dual_fmac_f32 v15, 0x3f5db3d7, v2 :: v_dual_fmac_f32 v22, 0.5, v1
	v_fmac_f32_e32 v23, 0x3f5db3d7, v1
	v_dual_add_f32 v1, v7, v21 :: v_dual_mul_f32 v2, 0xbf5db3d7, v18
	s_delay_alu instid0(VALU_DEP_2) | instskip(NEXT) | instid1(VALU_DEP_2)
	v_dual_add_f32 v5, v24, v22 :: v_dual_add_f32 v6, v25, v23
	v_fmac_f32_e32 v2, -0.5, v17
	s_wait_loadcnt 0x1
	ds_store_2addr_b64 v26, v[0:1], v[5:6] offset1:10
	v_sub_f32_e32 v1, v7, v21
	v_dual_mul_f32 v7, -0.5, v18 :: v_dual_sub_f32 v0, v8, v19
	v_add_f32_e32 v5, v15, v2
	s_delay_alu instid0(VALU_DEP_2) | instskip(NEXT) | instid1(VALU_DEP_1)
	v_dual_sub_f32 v8, v11, v43 :: v_dual_fmac_f32 v7, 0x3f5db3d7, v17
	v_add_f32_e32 v6, v16, v7
	ds_store_2addr_b64 v26, v[5:6], v[0:1] offset0:20 offset1:30
	v_dual_sub_f32 v1, v16, v7 :: v_dual_sub_f32 v0, v15, v2
	v_dual_sub_f32 v5, v24, v22 :: v_dual_sub_f32 v6, v25, v23
	v_add_f32_e32 v2, v10, v37
	ds_store_2addr_b64 v26, v[5:6], v[0:1] offset0:40 offset1:50
	v_add_f32_e32 v0, v4, v12
	v_add_f32_e32 v1, v12, v40
	v_dual_sub_f32 v5, v12, v40 :: v_dual_sub_f32 v12, v39, v41
	v_add_f32_e32 v14, v2, v42
	s_delay_alu instid0(VALU_DEP_4) | instskip(NEXT) | instid1(VALU_DEP_4)
	v_add_f32_e32 v6, v0, v40
	v_fmac_f32_e32 v4, -0.5, v1
	v_dual_add_f32 v0, v3, v11 :: v_dual_add_f32 v1, v37, v42
	s_delay_alu instid0(VALU_DEP_2) | instskip(NEXT) | instid1(VALU_DEP_2)
	v_fmamk_f32 v19, v8, 0x3f5db3d7, v4
	v_add_f32_e32 v7, v0, v43
	v_add_f32_e32 v0, v11, v43
	s_delay_alu instid0(VALU_DEP_4) | instskip(SKIP_1) | instid1(VALU_DEP_3)
	v_dual_fmac_f32 v10, -0.5, v1 :: v_dual_add_f32 v1, v9, v39
	v_dual_add_f32 v11, v39, v41 :: v_dual_fmac_f32 v4, 0xbf5db3d7, v8
	v_fma_f32 v17, -0.5, v0, v3
	s_delay_alu instid0(VALU_DEP_3) | instskip(NEXT) | instid1(VALU_DEP_3)
	v_add_f32_e32 v13, v1, v41
	v_fmac_f32_e32 v9, -0.5, v11
	v_sub_f32_e32 v11, v37, v42
	v_fmamk_f32 v1, v12, 0x3f5db3d7, v10
	v_fmamk_f32 v18, v5, 0xbf5db3d7, v17
	v_add_f32_e32 v0, v7, v13
	v_fmac_f32_e32 v10, 0xbf5db3d7, v12
	v_fmac_f32_e32 v17, 0x3f5db3d7, v5
	v_mul_f32_e32 v15, 0xbf5db3d7, v1
	v_dual_mul_f32 v16, 0.5, v1 :: v_dual_fmamk_f32 v1, v11, 0xbf5db3d7, v9
	v_fmac_f32_e32 v9, 0x3f5db3d7, v11
	v_mul_f32_e32 v5, 0xbf5db3d7, v10
	s_delay_alu instid0(VALU_DEP_3) | instskip(NEXT) | instid1(VALU_DEP_4)
	v_fmac_f32_e32 v15, 0.5, v1
	v_dual_fmac_f32 v16, 0x3f5db3d7, v1 :: v_dual_add_f32 v1, v6, v14
	s_delay_alu instid0(VALU_DEP_2) | instskip(NEXT) | instid1(VALU_DEP_2)
	v_dual_fmac_f32 v5, -0.5, v9 :: v_dual_add_f32 v2, v18, v15
	v_add_f32_e32 v3, v19, v16
	s_wait_loadcnt 0x0
	ds_store_2addr_b64 v20, v[0:1], v[2:3] offset1:10
	v_sub_f32_e32 v1, v6, v14
	v_mul_f32_e32 v6, -0.5, v10
	v_sub_f32_e32 v0, v7, v13
	v_add_f32_e32 v2, v17, v5
	s_delay_alu instid0(VALU_DEP_3) | instskip(NEXT) | instid1(VALU_DEP_1)
	v_fmac_f32_e32 v6, 0x3f5db3d7, v9
	v_add_f32_e32 v3, v4, v6
	ds_store_2addr_b64 v20, v[2:3], v[0:1] offset0:20 offset1:30
	v_dual_sub_f32 v1, v4, v6 :: v_dual_sub_f32 v0, v17, v5
	v_dual_sub_f32 v2, v18, v15 :: v_dual_sub_f32 v3, v19, v16
	ds_store_2addr_b64 v20, v[2:3], v[0:1] offset0:40 offset1:50
	global_wb scope:SCOPE_SE
	s_wait_dscnt 0x0
	s_barrier_signal -1
	s_barrier_wait -1
	global_inv scope:SCOPE_SE
	scratch_load_b64 v[4:5], off, off offset:328 th:TH_LOAD_LU ; 8-byte Folded Reload
	ds_load_2addr_stride64_b64 v[0:3], v149 offset0:32 offset1:34
	s_wait_loadcnt_dscnt 0x0
	v_mul_f32_e32 v32, v5, v1
	s_delay_alu instid0(VALU_DEP_1) | instskip(SKIP_1) | instid1(VALU_DEP_1)
	v_fmac_f32_e32 v32, v4, v0
	v_mul_f32_e32 v0, v5, v0
	v_fma_f32 v33, v4, v1, -v0
	scratch_load_b64 v[4:5], off, off offset:320 th:TH_LOAD_LU ; 8-byte Folded Reload
	s_wait_loadcnt 0x0
	v_mul_f32_e32 v34, v5, v3
	v_mul_f32_e32 v0, v5, v2
	s_delay_alu instid0(VALU_DEP_2) | instskip(NEXT) | instid1(VALU_DEP_2)
	v_fmac_f32_e32 v34, v4, v2
	v_fma_f32 v35, v4, v3, -v0
	scratch_load_b64 v[4:5], off, off offset:336 th:TH_LOAD_LU ; 8-byte Folded Reload
	ds_load_2addr_stride64_b64 v[0:3], v149 offset0:36 offset1:38
	s_wait_loadcnt_dscnt 0x0
	v_mul_f32_e32 v36, v5, v1
	s_delay_alu instid0(VALU_DEP_1) | instskip(SKIP_1) | instid1(VALU_DEP_1)
	v_fmac_f32_e32 v36, v4, v0
	v_mul_f32_e32 v0, v5, v0
	v_fma_f32 v37, v4, v1, -v0
	scratch_load_b64 v[4:5], off, off offset:360 th:TH_LOAD_LU ; 8-byte Folded Reload
	s_wait_loadcnt 0x0
	v_mul_f32_e32 v38, v5, v3
	v_mul_f32_e32 v0, v5, v2
	s_delay_alu instid0(VALU_DEP_2) | instskip(NEXT) | instid1(VALU_DEP_2)
	v_fmac_f32_e32 v38, v4, v2
	v_fma_f32 v39, v4, v3, -v0
	;; [unrolled: 15-line block ×7, first 2 shown]
	scratch_load_b64 v[4:5], off, off offset:416 th:TH_LOAD_LU ; 8-byte Folded Reload
	ds_load_2addr_stride64_b64 v[0:3], v149 offset0:28 offset1:30
	s_wait_loadcnt_dscnt 0x0
	v_mul_f32_e32 v6, v5, v3
	s_delay_alu instid0(VALU_DEP_1) | instskip(SKIP_1) | instid1(VALU_DEP_1)
	v_fmac_f32_e32 v6, v4, v2
	v_mul_f32_e32 v2, v5, v2
	v_fma_f32 v7, v4, v3, -v2
	ds_load_2addr_stride64_b64 v[2:5], v149 offset1:2
	s_wait_dscnt 0x0
	v_dual_sub_f32 v30, v2, v6 :: v_dual_sub_f32 v31, v3, v7
	ds_load_2addr_stride64_b64 v[6:9], v149 offset0:4 offset1:6
	ds_load_2addr_stride64_b64 v[10:13], v149 offset0:8 offset1:10
	;; [unrolled: 1-line block ×6, first 2 shown]
	global_wb scope:SCOPE_SE
	s_wait_dscnt 0x0
	s_barrier_signal -1
	s_barrier_wait -1
	global_inv scope:SCOPE_SE
	scratch_load_b32 v60, off, off offset:452 th:TH_LOAD_LU ; 4-byte Folded Reload
	v_fma_f32 v2, v2, 2.0, -v30
	v_fma_f32 v3, v3, 2.0, -v31
	s_wait_loadcnt 0x0
	ds_store_2addr_b64 v60, v[2:3], v[30:31] offset1:60
	scratch_load_b32 v30, off, off offset:448 th:TH_LOAD_LU ; 4-byte Folded Reload
	v_dual_sub_f32 v2, v4, v32 :: v_dual_sub_f32 v3, v5, v33
	s_delay_alu instid0(VALU_DEP_1) | instskip(NEXT) | instid1(VALU_DEP_2)
	v_fma_f32 v4, v4, 2.0, -v2
	v_fma_f32 v5, v5, 2.0, -v3
	s_wait_loadcnt 0x0
	ds_store_2addr_b64 v30, v[4:5], v[2:3] offset1:60
	v_dual_sub_f32 v2, v6, v34 :: v_dual_sub_f32 v3, v7, v35
	s_delay_alu instid0(VALU_DEP_1)
	v_fma_f32 v4, v6, 2.0, -v2
	scratch_load_b32 v6, off, off offset:444 th:TH_LOAD_LU ; 4-byte Folded Reload
	v_fma_f32 v5, v7, 2.0, -v3
	s_wait_loadcnt 0x0
	ds_store_2addr_b64 v6, v[4:5], v[2:3] offset1:60
	scratch_load_b32 v6, off, off offset:440 th:TH_LOAD_LU ; 4-byte Folded Reload
	v_dual_sub_f32 v2, v8, v36 :: v_dual_sub_f32 v3, v9, v37
	s_delay_alu instid0(VALU_DEP_1) | instskip(NEXT) | instid1(VALU_DEP_2)
	v_fma_f32 v4, v8, 2.0, -v2
	v_fma_f32 v5, v9, 2.0, -v3
	s_wait_loadcnt 0x0
	ds_store_2addr_b64 v6, v[4:5], v[2:3] offset1:60
	scratch_load_b32 v6, off, off offset:456 th:TH_LOAD_LU ; 4-byte Folded Reload
	v_dual_sub_f32 v2, v10, v38 :: v_dual_sub_f32 v3, v11, v39
	s_delay_alu instid0(VALU_DEP_1) | instskip(NEXT) | instid1(VALU_DEP_2)
	v_fma_f32 v4, v10, 2.0, -v2
	;; [unrolled: 7-line block ×12, first 2 shown]
	v_fma_f32 v1, v1, 2.0, -v3
	s_wait_loadcnt 0x0
	ds_store_2addr_b64 v4, v[0:1], v[2:3] offset1:60
	global_wb scope:SCOPE_SE
	s_wait_dscnt 0x0
	s_barrier_signal -1
	s_barrier_wait -1
	global_inv scope:SCOPE_SE
	scratch_load_b64 v[4:5], off, off offset:508 th:TH_LOAD_LU ; 8-byte Folded Reload
	ds_load_2addr_stride64_b64 v[0:3], v149 offset0:32 offset1:34
	s_wait_loadcnt_dscnt 0x0
	v_mul_f32_e32 v32, v5, v1
	s_delay_alu instid0(VALU_DEP_1) | instskip(SKIP_1) | instid1(VALU_DEP_1)
	v_fmac_f32_e32 v32, v4, v0
	v_mul_f32_e32 v0, v5, v0
	v_fma_f32 v33, v4, v1, -v0
	scratch_load_b64 v[4:5], off, off offset:500 th:TH_LOAD_LU ; 8-byte Folded Reload
	s_wait_loadcnt 0x0
	v_mul_f32_e32 v34, v5, v3
	v_mul_f32_e32 v0, v5, v2
	s_delay_alu instid0(VALU_DEP_2) | instskip(NEXT) | instid1(VALU_DEP_2)
	v_fmac_f32_e32 v34, v4, v2
	v_fma_f32 v35, v4, v3, -v0
	scratch_load_b64 v[4:5], off, off offset:516 th:TH_LOAD_LU ; 8-byte Folded Reload
	ds_load_2addr_stride64_b64 v[0:3], v149 offset0:36 offset1:38
	s_wait_loadcnt_dscnt 0x0
	v_mul_f32_e32 v36, v5, v1
	s_delay_alu instid0(VALU_DEP_1) | instskip(SKIP_1) | instid1(VALU_DEP_1)
	v_fmac_f32_e32 v36, v4, v0
	v_mul_f32_e32 v0, v5, v0
	v_fma_f32 v37, v4, v1, -v0
	scratch_load_b64 v[4:5], off, off offset:540 th:TH_LOAD_LU ; 8-byte Folded Reload
	s_wait_loadcnt 0x0
	v_mul_f32_e32 v38, v5, v3
	v_mul_f32_e32 v0, v5, v2
	s_delay_alu instid0(VALU_DEP_2) | instskip(NEXT) | instid1(VALU_DEP_2)
	v_fmac_f32_e32 v38, v4, v2
	v_fma_f32 v39, v4, v3, -v0
	;; [unrolled: 15-line block ×5, first 2 shown]
	scratch_load_b64 v[4:5], off, off offset:604 th:TH_LOAD_LU ; 8-byte Folded Reload
	ds_load_2addr_stride64_b64 v[0:3], v149 offset0:52 offset1:54
	s_wait_dscnt 0x0
	v_mul_f32_e32 v54, v207, v3
	s_delay_alu instid0(VALU_DEP_1) | instskip(SKIP_2) | instid1(VALU_DEP_1)
	v_fmac_f32_e32 v54, v206, v2
	s_wait_loadcnt 0x0
	v_mul_f32_e32 v52, v5, v1
	v_fmac_f32_e32 v52, v4, v0
	v_mul_f32_e32 v0, v5, v0
	s_delay_alu instid0(VALU_DEP_1) | instskip(SKIP_2) | instid1(VALU_DEP_1)
	v_fma_f32 v53, v4, v1, -v0
	scratch_load_b64 v[4:5], off, off offset:612 th:TH_LOAD_LU ; 8-byte Folded Reload
	v_mul_f32_e32 v0, v207, v2
	v_fma_f32 v55, v206, v3, -v0
	ds_load_2addr_stride64_b64 v[0:3], v149 offset0:56 offset1:58
	s_wait_dscnt 0x0
	v_mul_f32_e32 v56, v205, v1
	v_mul_f32_e32 v58, v203, v3
	s_delay_alu instid0(VALU_DEP_2) | instskip(SKIP_1) | instid1(VALU_DEP_3)
	v_fmac_f32_e32 v56, v204, v0
	v_mul_f32_e32 v0, v205, v0
	v_fmac_f32_e32 v58, v202, v2
	s_delay_alu instid0(VALU_DEP_2) | instskip(SKIP_1) | instid1(VALU_DEP_1)
	v_fma_f32 v57, v204, v1, -v0
	v_mul_f32_e32 v0, v203, v2
	v_fma_f32 v59, v202, v3, -v0
	ds_load_2addr_stride64_b64 v[0:3], v149 offset0:28 offset1:30
	s_wait_loadcnt_dscnt 0x0
	v_mul_f32_e32 v6, v5, v3
	s_delay_alu instid0(VALU_DEP_1) | instskip(SKIP_1) | instid1(VALU_DEP_1)
	v_fmac_f32_e32 v6, v4, v2
	v_mul_f32_e32 v2, v5, v2
	v_fma_f32 v7, v4, v3, -v2
	ds_load_2addr_stride64_b64 v[2:5], v149 offset1:2
	s_wait_dscnt 0x0
	v_dual_sub_f32 v30, v2, v6 :: v_dual_sub_f32 v31, v3, v7
	ds_load_2addr_stride64_b64 v[6:9], v149 offset0:4 offset1:6
	ds_load_2addr_stride64_b64 v[10:13], v149 offset0:8 offset1:10
	;; [unrolled: 1-line block ×6, first 2 shown]
	global_wb scope:SCOPE_SE
	s_wait_dscnt 0x0
	s_barrier_signal -1
	s_barrier_wait -1
	global_inv scope:SCOPE_SE
	scratch_load_b32 v60, off, off offset:644 th:TH_LOAD_LU ; 4-byte Folded Reload
	v_fma_f32 v2, v2, 2.0, -v30
	v_fma_f32 v3, v3, 2.0, -v31
	s_wait_loadcnt 0x0
	ds_store_2addr_b64 v60, v[2:3], v[30:31] offset1:120
	scratch_load_b32 v30, off, off offset:640 th:TH_LOAD_LU ; 4-byte Folded Reload
	v_dual_sub_f32 v2, v4, v32 :: v_dual_sub_f32 v3, v5, v33
	v_add_nc_u32_e32 v60, 0x800, v149
	s_delay_alu instid0(VALU_DEP_2) | instskip(NEXT) | instid1(VALU_DEP_3)
	v_fma_f32 v4, v4, 2.0, -v2
	v_fma_f32 v5, v5, 2.0, -v3
	s_wait_loadcnt 0x0
	ds_store_2addr_b64 v30, v[4:5], v[2:3] offset1:120
	v_dual_sub_f32 v2, v6, v34 :: v_dual_sub_f32 v3, v7, v35
	s_delay_alu instid0(VALU_DEP_1)
	v_fma_f32 v4, v6, 2.0, -v2
	scratch_load_b32 v6, off, off offset:636 th:TH_LOAD_LU ; 4-byte Folded Reload
	v_fma_f32 v5, v7, 2.0, -v3
	s_wait_loadcnt 0x0
	ds_store_2addr_b64 v6, v[4:5], v[2:3] offset1:120
	scratch_load_b32 v6, off, off offset:632 th:TH_LOAD_LU ; 4-byte Folded Reload
	v_dual_sub_f32 v2, v8, v36 :: v_dual_sub_f32 v3, v9, v37
	s_delay_alu instid0(VALU_DEP_1) | instskip(NEXT) | instid1(VALU_DEP_2)
	v_fma_f32 v4, v8, 2.0, -v2
	v_fma_f32 v5, v9, 2.0, -v3
	s_wait_loadcnt 0x0
	ds_store_2addr_b64 v6, v[4:5], v[2:3] offset1:120
	scratch_load_b32 v6, off, off offset:628 th:TH_LOAD_LU ; 4-byte Folded Reload
	v_dual_sub_f32 v2, v10, v38 :: v_dual_sub_f32 v3, v11, v39
	s_delay_alu instid0(VALU_DEP_1) | instskip(NEXT) | instid1(VALU_DEP_2)
	v_fma_f32 v4, v10, 2.0, -v2
	;; [unrolled: 7-line block ×12, first 2 shown]
	v_fma_f32 v1, v1, 2.0, -v3
	s_wait_loadcnt 0x0
	ds_store_2addr_b64 v4, v[0:1], v[2:3] offset1:120
	global_wb scope:SCOPE_SE
	s_wait_dscnt 0x0
	s_barrier_signal -1
	s_barrier_wait -1
	global_inv scope:SCOPE_SE
	ds_load_2addr_stride64_b64 v[0:3], v149 offset0:32 offset1:34
	s_wait_dscnt 0x0
	v_mul_f32_e32 v6, v209, v1
	v_mul_f32_e32 v34, v213, v3
	s_delay_alu instid0(VALU_DEP_2) | instskip(SKIP_1) | instid1(VALU_DEP_3)
	v_fmac_f32_e32 v6, v208, v0
	v_mul_f32_e32 v0, v209, v0
	v_fmac_f32_e32 v34, v212, v2
	s_delay_alu instid0(VALU_DEP_2) | instskip(SKIP_1) | instid1(VALU_DEP_1)
	v_fma_f32 v7, v208, v1, -v0
	v_mul_f32_e32 v0, v213, v2
	v_fma_f32 v35, v212, v3, -v0
	ds_load_2addr_stride64_b64 v[0:3], v149 offset0:36 offset1:38
	s_wait_dscnt 0x0
	v_mul_f32_e32 v36, v211, v1
	v_mul_f32_e32 v38, v233, v3
	s_delay_alu instid0(VALU_DEP_2) | instskip(SKIP_1) | instid1(VALU_DEP_3)
	v_fmac_f32_e32 v36, v210, v0
	v_mul_f32_e32 v0, v211, v0
	v_fmac_f32_e32 v38, v232, v2
	s_delay_alu instid0(VALU_DEP_2) | instskip(SKIP_1) | instid1(VALU_DEP_1)
	v_fma_f32 v37, v210, v1, -v0
	v_mul_f32_e32 v0, v233, v2
	v_fma_f32 v39, v232, v3, -v0
	ds_load_2addr_stride64_b64 v[0:3], v149 offset0:40 offset1:42
	s_wait_dscnt 0x0
	v_mul_f32_e32 v40, v225, v1
	v_mul_f32_e32 v42, v221, v3
	s_delay_alu instid0(VALU_DEP_2) | instskip(SKIP_1) | instid1(VALU_DEP_3)
	v_fmac_f32_e32 v40, v224, v0
	v_mul_f32_e32 v0, v225, v0
	v_fmac_f32_e32 v42, v220, v2
	s_delay_alu instid0(VALU_DEP_2) | instskip(SKIP_1) | instid1(VALU_DEP_1)
	v_fma_f32 v41, v224, v1, -v0
	v_mul_f32_e32 v0, v221, v2
	v_fma_f32 v43, v220, v3, -v0
	ds_load_2addr_stride64_b64 v[0:3], v149 offset0:44 offset1:46
	s_wait_dscnt 0x0
	v_mul_f32_e32 v44, v217, v1
	v_mul_f32_e32 v46, v237, v3
	s_delay_alu instid0(VALU_DEP_2) | instskip(SKIP_1) | instid1(VALU_DEP_3)
	v_fmac_f32_e32 v44, v216, v0
	v_mul_f32_e32 v0, v217, v0
	v_fmac_f32_e32 v46, v236, v2
	s_delay_alu instid0(VALU_DEP_2) | instskip(SKIP_1) | instid1(VALU_DEP_1)
	v_fma_f32 v45, v216, v1, -v0
	v_mul_f32_e32 v0, v237, v2
	v_fma_f32 v47, v236, v3, -v0
	ds_load_2addr_stride64_b64 v[0:3], v149 offset0:48 offset1:50
	s_wait_dscnt 0x0
	v_mul_f32_e32 v48, v231, v1
	v_mul_f32_e32 v50, v229, v3
	s_delay_alu instid0(VALU_DEP_2) | instskip(SKIP_1) | instid1(VALU_DEP_3)
	v_fmac_f32_e32 v48, v230, v0
	v_mul_f32_e32 v0, v231, v0
	v_fmac_f32_e32 v50, v228, v2
	s_delay_alu instid0(VALU_DEP_2) | instskip(SKIP_1) | instid1(VALU_DEP_1)
	v_fma_f32 v49, v230, v1, -v0
	v_mul_f32_e32 v0, v229, v2
	v_fma_f32 v51, v228, v3, -v0
	ds_load_2addr_stride64_b64 v[0:3], v149 offset0:52 offset1:54
	s_wait_dscnt 0x0
	v_mul_f32_e32 v52, v219, v1
	v_mul_f32_e32 v54, v235, v3
	s_delay_alu instid0(VALU_DEP_2) | instskip(SKIP_1) | instid1(VALU_DEP_3)
	v_fmac_f32_e32 v52, v218, v0
	v_mul_f32_e32 v0, v219, v0
	v_fmac_f32_e32 v54, v234, v2
	s_delay_alu instid0(VALU_DEP_2) | instskip(SKIP_1) | instid1(VALU_DEP_1)
	v_fma_f32 v53, v218, v1, -v0
	v_mul_f32_e32 v0, v235, v2
	v_fma_f32 v55, v234, v3, -v0
	ds_load_2addr_stride64_b64 v[0:3], v149 offset0:56 offset1:58
	s_wait_dscnt 0x0
	v_mul_f32_e32 v56, v227, v1
	v_mul_f32_e32 v58, v223, v3
	s_delay_alu instid0(VALU_DEP_2) | instskip(SKIP_1) | instid1(VALU_DEP_3)
	v_fmac_f32_e32 v56, v226, v0
	v_mul_f32_e32 v0, v227, v0
	v_fmac_f32_e32 v58, v222, v2
	s_delay_alu instid0(VALU_DEP_2) | instskip(SKIP_1) | instid1(VALU_DEP_1)
	v_fma_f32 v57, v226, v1, -v0
	v_mul_f32_e32 v0, v223, v2
	v_fma_f32 v59, v222, v3, -v0
	ds_load_2addr_stride64_b64 v[0:3], v149 offset0:28 offset1:30
	s_wait_dscnt 0x0
	v_mul_f32_e32 v8, v215, v3
	s_delay_alu instid0(VALU_DEP_1) | instskip(SKIP_1) | instid1(VALU_DEP_1)
	v_fmac_f32_e32 v8, v214, v2
	v_mul_f32_e32 v2, v215, v2
	v_fma_f32 v9, v214, v3, -v2
	ds_load_2addr_stride64_b64 v[2:5], v149 offset1:2
	s_wait_dscnt 0x0
	v_dual_sub_f32 v26, v2, v8 :: v_dual_sub_f32 v27, v3, v9
	v_dual_sub_f32 v28, v4, v6 :: v_dual_sub_f32 v29, v5, v7
	s_delay_alu instid0(VALU_DEP_2) | instskip(NEXT) | instid1(VALU_DEP_3)
	v_fma_f32 v30, v2, 2.0, -v26
	v_fma_f32 v31, v3, 2.0, -v27
	s_delay_alu instid0(VALU_DEP_3) | instskip(NEXT) | instid1(VALU_DEP_4)
	v_fma_f32 v32, v4, 2.0, -v28
	v_fma_f32 v33, v5, 2.0, -v29
	ds_load_2addr_stride64_b64 v[2:5], v149 offset0:4 offset1:6
	ds_load_2addr_stride64_b64 v[6:9], v149 offset0:8 offset1:10
	;; [unrolled: 1-line block ×6, first 2 shown]
	global_wb scope:SCOPE_SE
	s_wait_dscnt 0x0
	s_barrier_signal -1
	s_barrier_wait -1
	global_inv scope:SCOPE_SE
	ds_store_2addr_b64 v149, v[30:31], v[26:27] offset1:240
	scratch_load_b32 v26, off, off offset:704 th:TH_LOAD_LU ; 4-byte Folded Reload
	v_sub_f32_e32 v27, v3, v35
	s_delay_alu instid0(VALU_DEP_1) | instskip(SKIP_4) | instid1(VALU_DEP_2)
	v_fma_f32 v3, v3, 2.0, -v27
	s_wait_loadcnt 0x0
	ds_store_2addr_b64 v26, v[32:33], v[28:29] offset1:240
	v_sub_f32_e32 v26, v2, v34
	v_add_nc_u32_e32 v28, 0xf80, v149
	v_fma_f32 v2, v2, 2.0, -v26
	ds_store_2addr_b64 v28, v[2:3], v[26:27] offset1:240
	scratch_load_b32 v26, off, off offset:700 th:TH_LOAD_LU ; 4-byte Folded Reload
	v_dual_sub_f32 v2, v4, v36 :: v_dual_sub_f32 v3, v5, v37
	s_delay_alu instid0(VALU_DEP_1) | instskip(NEXT) | instid1(VALU_DEP_2)
	v_fma_f32 v4, v4, 2.0, -v2
	v_fma_f32 v5, v5, 2.0, -v3
	s_wait_loadcnt 0x0
	ds_store_2addr_b64 v26, v[4:5], v[2:3] offset1:240
	v_dual_sub_f32 v2, v6, v38 :: v_dual_sub_f32 v3, v7, v39
	s_delay_alu instid0(VALU_DEP_1)
	v_fma_f32 v4, v6, 2.0, -v2
	scratch_load_b32 v6, off, off offset:696 th:TH_LOAD_LU ; 4-byte Folded Reload
	v_fma_f32 v5, v7, 2.0, -v3
	s_wait_loadcnt 0x0
	ds_store_2addr_b64 v6, v[4:5], v[2:3] offset1:240
	scratch_load_b32 v6, off, off offset:692 th:TH_LOAD_LU ; 4-byte Folded Reload
	v_dual_sub_f32 v2, v8, v40 :: v_dual_sub_f32 v3, v9, v41
	s_delay_alu instid0(VALU_DEP_1) | instskip(NEXT) | instid1(VALU_DEP_2)
	v_fma_f32 v4, v8, 2.0, -v2
	v_fma_f32 v5, v9, 2.0, -v3
	s_wait_loadcnt 0x0
	ds_store_2addr_b64 v6, v[4:5], v[2:3] offset1:240
	scratch_load_b32 v6, off, off offset:688 th:TH_LOAD_LU ; 4-byte Folded Reload
	v_dual_sub_f32 v2, v10, v42 :: v_dual_sub_f32 v3, v11, v43
	s_delay_alu instid0(VALU_DEP_1) | instskip(NEXT) | instid1(VALU_DEP_2)
	v_fma_f32 v4, v10, 2.0, -v2
	;; [unrolled: 7-line block ×10, first 2 shown]
	v_fma_f32 v1, v1, 2.0, -v3
	s_wait_loadcnt 0x0
	ds_store_2addr_b64 v4, v[0:1], v[2:3] offset1:240
	global_wb scope:SCOPE_SE
	s_wait_dscnt 0x0
	s_barrier_signal -1
	s_barrier_wait -1
	global_inv scope:SCOPE_SE
	ds_load_2addr_stride64_b64 v[0:3], v149 offset0:32 offset1:34
	s_wait_dscnt 0x0
	v_mul_f32_e32 v34, v249, v1
	v_mul_f32_e32 v6, v247, v3
	s_delay_alu instid0(VALU_DEP_2) | instskip(SKIP_1) | instid1(VALU_DEP_3)
	v_fmac_f32_e32 v34, v248, v0
	v_mul_f32_e32 v0, v249, v0
	v_fmac_f32_e32 v6, v246, v2
	s_delay_alu instid0(VALU_DEP_2) | instskip(SKIP_1) | instid1(VALU_DEP_1)
	v_fma_f32 v35, v248, v1, -v0
	v_mul_f32_e32 v0, v247, v2
	v_fma_f32 v7, v246, v3, -v0
	ds_load_2addr_stride64_b64 v[0:3], v149 offset0:36 offset1:38
	s_wait_dscnt 0x0
	v_mul_f32_e32 v36, v251, v1
	v_mul_f32_e32 v38, v245, v3
	s_delay_alu instid0(VALU_DEP_2) | instskip(SKIP_1) | instid1(VALU_DEP_3)
	v_fmac_f32_e32 v36, v250, v0
	v_mul_f32_e32 v0, v251, v0
	v_fmac_f32_e32 v38, v244, v2
	s_delay_alu instid0(VALU_DEP_2) | instskip(SKIP_1) | instid1(VALU_DEP_1)
	v_fma_f32 v37, v250, v1, -v0
	v_mul_f32_e32 v0, v245, v2
	v_fma_f32 v39, v244, v3, -v0
	;; [unrolled: 12-line block ×7, first 2 shown]
	ds_load_2addr_stride64_b64 v[0:3], v149 offset0:28 offset1:30
	s_wait_dscnt 0x0
	v_mul_f32_e32 v10, v253, v3
	s_delay_alu instid0(VALU_DEP_1) | instskip(SKIP_1) | instid1(VALU_DEP_1)
	v_fmac_f32_e32 v10, v252, v2
	v_mul_f32_e32 v2, v253, v2
	v_fma_f32 v11, v252, v3, -v2
	ds_load_2addr_stride64_b64 v[2:5], v149 offset0:4 offset1:6
	s_wait_dscnt 0x0
	v_dual_sub_f32 v30, v2, v6 :: v_dual_sub_f32 v31, v3, v7
	ds_load_2addr_stride64_b64 v[6:9], v149 offset1:2
	v_fma_f32 v2, v2, 2.0, -v30
	v_fma_f32 v3, v3, 2.0, -v31
	s_wait_dscnt 0x0
	v_dual_sub_f32 v32, v6, v10 :: v_dual_sub_f32 v33, v7, v11
	ds_load_2addr_stride64_b64 v[10:13], v149 offset0:8 offset1:10
	ds_load_2addr_stride64_b64 v[14:17], v149 offset0:12 offset1:14
	;; [unrolled: 1-line block ×5, first 2 shown]
	global_wb scope:SCOPE_SE
	s_wait_dscnt 0x0
	s_barrier_signal -1
	s_barrier_wait -1
	global_inv scope:SCOPE_SE
	ds_store_2addr_b64 v60, v[2:3], v[32:33] offset1:224
	v_fma_f32 v2, v6, 2.0, -v32
	v_fma_f32 v3, v7, 2.0, -v33
	v_dual_sub_f32 v6, v8, v34 :: v_dual_sub_f32 v7, v9, v35
	v_dual_sub_f32 v32, v4, v36 :: v_dual_sub_f32 v33, v5, v37
	s_delay_alu instid0(VALU_DEP_2) | instskip(NEXT) | instid1(VALU_DEP_3)
	v_fma_f32 v8, v8, 2.0, -v6
	v_fma_f32 v9, v9, 2.0, -v7
	s_delay_alu instid0(VALU_DEP_3)
	v_fma_f32 v4, v4, 2.0, -v32
	v_dual_sub_f32 v34, v10, v38 :: v_dual_sub_f32 v35, v11, v39
	v_sub_f32_e32 v36, v12, v40
	ds_store_2addr_stride64_b64 v149, v[2:3], v[8:9] offset1:2
	scratch_load_b32 v3, off, off offset:740 th:TH_LOAD_LU ; 4-byte Folded Reload
	v_sub_f32_e32 v37, v13, v41
	v_fma_f32 v5, v5, 2.0, -v33
	v_add_nc_u32_e32 v2, 0x100, v149
	v_fma_f32 v10, v10, 2.0, -v34
	v_fma_f32 v11, v11, 2.0, -v35
	;; [unrolled: 1-line block ×4, first 2 shown]
	ds_store_2addr_stride64_b64 v2, v[6:7], v[30:31] offset0:9 offset1:11
	s_wait_loadcnt 0x0
	ds_store_b64 v3, v[4:5]
	ds_store_b64 v3, v[32:33] offset:3840
	ds_store_2addr_stride64_b64 v2, v[10:11], v[12:13] offset0:15 offset1:17
	v_dual_sub_f32 v2, v14, v42 :: v_dual_sub_f32 v3, v15, v43
	v_add_nc_u32_e32 v6, 0x2700, v149
	v_dual_sub_f32 v8, v18, v46 :: v_dual_sub_f32 v9, v19, v47
	s_delay_alu instid0(VALU_DEP_3)
	v_fma_f32 v4, v14, 2.0, -v2
	ds_store_2addr_stride64_b64 v149, v[36:37], v[2:3] offset0:25 offset1:27
	scratch_load_b32 v2, off, off offset:720 th:TH_LOAD_LU ; 4-byte Folded Reload
	v_fma_f32 v5, v15, 2.0, -v3
	v_fma_f32 v12, v18, 2.0, -v8
	;; [unrolled: 1-line block ×3, first 2 shown]
	v_dual_sub_f32 v10, v20, v48 :: v_dual_sub_f32 v11, v21, v49
	ds_store_2addr_b64 v6, v[4:5], v[34:35] offset1:224
	v_dual_sub_f32 v4, v16, v44 :: v_dual_sub_f32 v5, v17, v45
	v_fma_f32 v14, v20, 2.0, -v10
	v_fma_f32 v15, v21, 2.0, -v11
	v_sub_f32_e32 v18, v24, v52
	s_delay_alu instid0(VALU_DEP_4)
	v_fma_f32 v6, v16, 2.0, -v4
	v_fma_f32 v7, v17, 2.0, -v5
	s_wait_loadcnt 0x0
	ds_store_b64 v2, v[6:7]
	ds_store_b64 v2, v[4:5] offset:3840
	scratch_load_b32 v2, off, off offset:716 th:TH_LOAD_LU ; 4-byte Folded Reload
	s_wait_loadcnt 0x0
	ds_store_b64 v2, v[12:13] offset:15360
	ds_store_b64 v2, v[8:9] offset:19200
	scratch_load_b32 v2, off, off offset:712 th:TH_LOAD_LU ; 4-byte Folded Reload
	s_wait_loadcnt 0x0
	ds_store_b64 v2, v[14:15] offset:15360
	ds_store_b64 v2, v[10:11] offset:19200
	scratch_load_b32 v2, off, off offset:708 th:TH_LOAD_LU ; 4-byte Folded Reload
	v_dual_sub_f32 v16, v22, v50 :: v_dual_sub_f32 v17, v23, v51
	v_dual_sub_f32 v19, v25, v53 :: v_dual_sub_f32 v30, v28, v56
	v_sub_f32_e32 v31, v29, v57
	s_delay_alu instid0(VALU_DEP_3) | instskip(NEXT) | instid1(VALU_DEP_4)
	v_fma_f32 v20, v22, 2.0, -v16
	v_fma_f32 v21, v23, 2.0, -v17
	s_wait_loadcnt 0x0
	ds_store_b64 v2, v[20:21] offset:15360
	ds_store_b64 v2, v[16:17] offset:19200
	scratch_load_b32 v2, off, off offset:736 th:TH_LOAD_LU ; 4-byte Folded Reload
	v_fma_f32 v22, v24, 2.0, -v18
	v_fma_f32 v23, v25, 2.0, -v19
	s_wait_loadcnt 0x0
	ds_store_b64 v2, v[22:23]
	ds_store_b64 v2, v[18:19] offset:3840
	scratch_load_b32 v2, off, off offset:732 th:TH_LOAD_LU ; 4-byte Folded Reload
	v_dual_sub_f32 v24, v26, v54 :: v_dual_sub_f32 v25, v27, v55
	v_fma_f32 v28, v28, 2.0, -v30
	v_fma_f32 v29, v29, 2.0, -v31
	v_sub_f32_e32 v32, v0, v58
	s_delay_alu instid0(VALU_DEP_4)
	v_fma_f32 v26, v26, 2.0, -v24
	v_fma_f32 v27, v27, 2.0, -v25
	s_wait_loadcnt 0x0
	ds_store_b64 v2, v[26:27] offset:23040
	ds_store_b64 v2, v[24:25] offset:26880
	scratch_load_b32 v2, off, off offset:728 th:TH_LOAD_LU ; 4-byte Folded Reload
	s_wait_loadcnt 0x0
	ds_store_b64 v2, v[28:29] offset:23040
	ds_store_b64 v2, v[30:31] offset:26880
	scratch_load_b32 v2, off, off offset:724 th:TH_LOAD_LU ; 4-byte Folded Reload
	v_sub_f32_e32 v33, v1, v59
	v_fma_f32 v0, v0, 2.0, -v32
	s_delay_alu instid0(VALU_DEP_2)
	v_fma_f32 v1, v1, 2.0, -v33
	s_wait_loadcnt 0x0
	ds_store_b64 v2, v[0:1] offset:23040
	ds_store_b64 v2, v[32:33] offset:26880
	global_wb scope:SCOPE_SE
	s_wait_dscnt 0x0
	s_barrier_signal -1
	s_barrier_wait -1
	global_inv scope:SCOPE_SE
	ds_load_2addr_stride64_b64 v[0:3], v149 offset0:32 offset1:34
	s_wait_dscnt 0x0
	v_mul_f32_e32 v6, v255, v1
	v_mul_f32_e32 v8, v173, v3
	s_delay_alu instid0(VALU_DEP_2) | instskip(SKIP_1) | instid1(VALU_DEP_3)
	v_fmac_f32_e32 v6, v254, v0
	v_mul_f32_e32 v0, v255, v0
	v_fmac_f32_e32 v8, v172, v2
	s_delay_alu instid0(VALU_DEP_2) | instskip(SKIP_1) | instid1(VALU_DEP_1)
	v_fma_f32 v7, v254, v1, -v0
	v_mul_f32_e32 v0, v173, v2
	v_fma_f32 v9, v172, v3, -v0
	ds_load_2addr_stride64_b64 v[0:3], v149 offset0:36 offset1:38
	s_wait_dscnt 0x0
	v_mul_f32_e32 v10, v165, v1
	v_mul_f32_e32 v12, v169, v3
	s_delay_alu instid0(VALU_DEP_2) | instskip(SKIP_1) | instid1(VALU_DEP_3)
	v_fmac_f32_e32 v10, v164, v0
	v_mul_f32_e32 v0, v165, v0
	v_fmac_f32_e32 v12, v168, v2
	s_delay_alu instid0(VALU_DEP_2) | instskip(SKIP_1) | instid1(VALU_DEP_1)
	v_fma_f32 v11, v164, v1, -v0
	v_mul_f32_e32 v0, v169, v2
	v_fma_f32 v13, v168, v3, -v0
	;; [unrolled: 12-line block ×7, first 2 shown]
	ds_load_2addr_stride64_b64 v[0:3], v149 offset0:28 offset1:30
	s_wait_dscnt 0x0
	v_mul_f32_e32 v14, v177, v3
	s_delay_alu instid0(VALU_DEP_1) | instskip(SKIP_1) | instid1(VALU_DEP_1)
	v_fmac_f32_e32 v14, v176, v2
	v_mul_f32_e32 v2, v177, v2
	v_fma_f32 v15, v176, v3, -v2
	ds_load_2addr_stride64_b64 v[2:5], v149 offset1:2
	s_wait_dscnt 0x0
	v_dual_sub_f32 v14, v2, v14 :: v_dual_sub_f32 v15, v3, v15
	v_dual_sub_f32 v16, v4, v6 :: v_dual_sub_f32 v17, v5, v7
	s_delay_alu instid0(VALU_DEP_2) | instskip(NEXT) | instid1(VALU_DEP_3)
	v_fma_f32 v18, v2, 2.0, -v14
	v_fma_f32 v19, v3, 2.0, -v15
	s_delay_alu instid0(VALU_DEP_3) | instskip(NEXT) | instid1(VALU_DEP_4)
	v_fma_f32 v20, v4, 2.0, -v16
	v_fma_f32 v21, v5, 2.0, -v17
	ds_load_2addr_stride64_b64 v[2:5], v149 offset0:4 offset1:6
	s_wait_dscnt 0x0
	v_dual_sub_f32 v22, v2, v8 :: v_dual_sub_f32 v23, v3, v9
	v_dual_sub_f32 v24, v4, v10 :: v_dual_sub_f32 v25, v5, v11
	s_delay_alu instid0(VALU_DEP_2) | instskip(NEXT) | instid1(VALU_DEP_3)
	v_fma_f32 v26, v2, 2.0, -v22
	v_fma_f32 v27, v3, 2.0, -v23
	s_delay_alu instid0(VALU_DEP_3) | instskip(NEXT) | instid1(VALU_DEP_4)
	v_fma_f32 v28, v4, 2.0, -v24
	v_fma_f32 v29, v5, 2.0, -v25
	ds_load_2addr_stride64_b64 v[2:5], v149 offset0:8 offset1:10
	;; [unrolled: 10-line block ×4, first 2 shown]
	ds_load_2addr_stride64_b64 v[6:9], v149 offset0:20 offset1:22
	ds_load_2addr_stride64_b64 v[10:13], v149 offset0:24 offset1:26
	global_wb scope:SCOPE_SE
	s_wait_dscnt 0x0
	s_barrier_signal -1
	s_barrier_wait -1
	global_inv scope:SCOPE_SE
	ds_store_2addr_stride64_b64 v149, v[18:19], v[20:21] offset1:2
	ds_store_2addr_stride64_b64 v149, v[16:17], v[22:23] offset0:17 offset1:19
	ds_store_2addr_stride64_b64 v149, v[26:27], v[28:29] offset0:4 offset1:6
	ds_store_2addr_stride64_b64 v149, v[24:25], v[30:31] offset0:21 offset1:23
	ds_store_2addr_stride64_b64 v149, v[34:35], v[36:37] offset0:8 offset1:10
	ds_store_2addr_stride64_b64 v149, v[42:43], v[14:15] offset0:12 offset1:15
	ds_store_2addr_stride64_b64 v149, v[32:33], v[38:39] offset0:25 offset1:27
	scratch_load_b32 v14, off, off offset:744 th:TH_LOAD_LU ; 4-byte Folded Reload
	v_dual_sub_f32 v26, v0, v58 :: v_dual_sub_f32 v27, v1, v59
	s_delay_alu instid0(VALU_DEP_1) | instskip(NEXT) | instid1(VALU_DEP_2)
	v_fma_f32 v0, v0, 2.0, -v26
	v_fma_f32 v1, v1, 2.0, -v27
	v_dual_sub_f32 v15, v3, v47 :: v_dual_sub_f32 v16, v4, v48
	v_dual_sub_f32 v17, v5, v49 :: v_dual_sub_f32 v18, v6, v50
	;; [unrolled: 1-line block ×5, first 2 shown]
	v_sub_f32_e32 v25, v13, v57
	v_fma_f32 v3, v3, 2.0, -v15
	v_fma_f32 v4, v4, 2.0, -v16
	;; [unrolled: 1-line block ×11, first 2 shown]
	s_wait_loadcnt 0x0
	ds_store_2addr_stride64_b64 v14, v[44:45], v[40:41] offset1:15
	v_sub_f32_e32 v14, v2, v46
	s_delay_alu instid0(VALU_DEP_1)
	v_fma_f32 v2, v2, 2.0, -v14
	ds_store_2addr_stride64_b64 v149, v[2:3], v[4:5] offset0:31 offset1:33
	ds_store_2addr_stride64_b64 v149, v[16:17], v[18:19] offset0:48 offset1:50
	;; [unrolled: 1-line block ×7, first 2 shown]
	global_wb scope:SCOPE_SE
	s_wait_dscnt 0x0
	s_barrier_signal -1
	s_barrier_wait -1
	global_inv scope:SCOPE_SE
	ds_load_2addr_stride64_b64 v[0:3], v149 offset0:32 offset1:34
	s_wait_dscnt 0x0
	v_mul_f32_e32 v8, v142, v1
	v_mul_f32_e32 v14, v136, v3
	s_delay_alu instid0(VALU_DEP_2) | instskip(SKIP_1) | instid1(VALU_DEP_3)
	v_fmac_f32_e32 v8, v141, v0
	v_mul_f32_e32 v0, v142, v0
	v_fmac_f32_e32 v14, v135, v2
	s_delay_alu instid0(VALU_DEP_2) | instskip(SKIP_1) | instid1(VALU_DEP_1)
	v_fma_f32 v9, v141, v1, -v0
	v_mul_f32_e32 v0, v136, v2
	v_fma_f32 v15, v135, v3, -v0
	ds_load_2addr_stride64_b64 v[0:3], v149 offset0:36 offset1:38
	s_wait_dscnt 0x0
	v_mul_f32_e32 v16, v140, v1
	v_mul_f32_e32 v22, v80, v3
	s_delay_alu instid0(VALU_DEP_2) | instskip(SKIP_1) | instid1(VALU_DEP_3)
	v_fmac_f32_e32 v16, v139, v0
	v_mul_f32_e32 v0, v140, v0
	v_fmac_f32_e32 v22, v79, v2
	s_delay_alu instid0(VALU_DEP_2) | instskip(SKIP_1) | instid1(VALU_DEP_1)
	v_fma_f32 v17, v139, v1, -v0
	v_mul_f32_e32 v0, v80, v2
	v_fma_f32 v23, v79, v3, -v0
	;; [unrolled: 12-line block ×7, first 2 shown]
	ds_load_2addr_stride64_b64 v[0:3], v149 offset0:28 offset1:30
	s_wait_dscnt 0x0
	v_mul_f32_e32 v6, v134, v3
	v_dual_sub_f32 v58, v0, v58 :: v_dual_sub_f32 v59, v1, v59
	s_delay_alu instid0(VALU_DEP_2) | instskip(SKIP_1) | instid1(VALU_DEP_3)
	v_fmac_f32_e32 v6, v133, v2
	v_mul_f32_e32 v2, v134, v2
	v_fma_f32 v0, v0, 2.0, -v58
	s_delay_alu instid0(VALU_DEP_4) | instskip(NEXT) | instid1(VALU_DEP_3)
	v_fma_f32 v1, v1, 2.0, -v59
	v_fma_f32 v7, v133, v3, -v2
	ds_load_2addr_stride64_b64 v[2:5], v149 offset1:2
	s_wait_dscnt 0x0
	v_dual_sub_f32 v6, v2, v6 :: v_dual_sub_f32 v7, v3, v7
	v_dual_sub_f32 v8, v4, v8 :: v_dual_sub_f32 v9, v5, v9
	s_delay_alu instid0(VALU_DEP_2) | instskip(NEXT) | instid1(VALU_DEP_3)
	v_fma_f32 v10, v2, 2.0, -v6
	v_fma_f32 v11, v3, 2.0, -v7
	s_delay_alu instid0(VALU_DEP_3) | instskip(NEXT) | instid1(VALU_DEP_4)
	v_fma_f32 v12, v4, 2.0, -v8
	v_fma_f32 v13, v5, 2.0, -v9
	ds_load_2addr_stride64_b64 v[2:5], v149 offset0:4 offset1:6
	s_wait_dscnt 0x0
	v_dual_sub_f32 v14, v2, v14 :: v_dual_sub_f32 v15, v3, v15
	v_dual_sub_f32 v16, v4, v16 :: v_dual_sub_f32 v17, v5, v17
	s_delay_alu instid0(VALU_DEP_2) | instskip(NEXT) | instid1(VALU_DEP_3)
	v_fma_f32 v18, v2, 2.0, -v14
	v_fma_f32 v19, v3, 2.0, -v15
	s_delay_alu instid0(VALU_DEP_3) | instskip(NEXT) | instid1(VALU_DEP_4)
	v_fma_f32 v20, v4, 2.0, -v16
	v_fma_f32 v21, v5, 2.0, -v17
	ds_load_2addr_stride64_b64 v[2:5], v149 offset0:8 offset1:10
	;; [unrolled: 10-line block ×6, first 2 shown]
	s_wait_dscnt 0x0
	v_dual_sub_f32 v54, v2, v54 :: v_dual_sub_f32 v55, v3, v55
	v_dual_sub_f32 v56, v4, v56 :: v_dual_sub_f32 v57, v5, v57
	s_delay_alu instid0(VALU_DEP_2) | instskip(NEXT) | instid1(VALU_DEP_3)
	v_fma_f32 v2, v2, 2.0, -v54
	v_fma_f32 v3, v3, 2.0, -v55
	s_delay_alu instid0(VALU_DEP_3) | instskip(NEXT) | instid1(VALU_DEP_4)
	v_fma_f32 v4, v4, 2.0, -v56
	v_fma_f32 v5, v5, 2.0, -v57
	ds_store_2addr_stride64_b64 v149, v[10:11], v[12:13] offset1:2
	ds_store_2addr_stride64_b64 v149, v[8:9], v[14:15] offset0:32 offset1:34
	ds_store_2addr_stride64_b64 v149, v[18:19], v[20:21] offset0:4 offset1:6
	;; [unrolled: 1-line block ×14, first 2 shown]
	global_wb scope:SCOPE_SE
	s_wait_dscnt 0x0
	s_barrier_signal -1
	s_barrier_wait -1
	global_inv scope:SCOPE_SE
	scratch_load_b64 v[6:7], off, off offset:240 th:TH_LOAD_LU ; 8-byte Folded Reload
	ds_load_2addr_stride64_b64 v[2:5], v149 offset1:2
	s_clause 0x4
	scratch_load_b64 v[13:14], off, off offset:224 th:TH_LOAD_LU
	scratch_load_b64 v[10:11], off, off offset:192 th:TH_LOAD_LU
	;; [unrolled: 1-line block ×5, first 2 shown]
	s_wait_loadcnt_dscnt 0x500
	v_mul_f32_e32 v1, v7, v3
	v_mul_f32_e32 v0, v7, v2
	s_delay_alu instid0(VALU_DEP_2) | instskip(NEXT) | instid1(VALU_DEP_2)
	v_fmac_f32_e32 v1, v6, v2
	v_fma_f32 v2, v6, v3, -v0
	scratch_load_b64 v[6:7], off, off offset:200 th:TH_LOAD_LU ; 8-byte Folded Reload
	s_wait_loadcnt 0x0
	v_mul_f32_e32 v3, v7, v5
	v_mul_f32_e32 v0, v7, v4
	s_delay_alu instid0(VALU_DEP_2) | instskip(NEXT) | instid1(VALU_DEP_2)
	v_fmac_f32_e32 v3, v6, v4
	v_fma_f32 v5, v6, v5, -v0
	ds_load_2addr_stride64_b64 v[6:9], v149 offset0:12 offset1:14
	s_wait_dscnt 0x0
	v_mul_f32_e32 v15, v11, v7
	v_mul_f32_e32 v0, v11, v6
	s_delay_alu instid0(VALU_DEP_2) | instskip(NEXT) | instid1(VALU_DEP_2)
	v_fmac_f32_e32 v15, v10, v6
	v_fma_f32 v17, v10, v7, -v0
	scratch_load_b64 v[6:7], off, off offset:184 th:TH_LOAD_LU ; 8-byte Folded Reload
	v_cvt_f64_f32_e32 v[34:35], v17
	s_wait_alu 0xfffe
	s_delay_alu instid0(VALU_DEP_1) | instskip(SKIP_3) | instid1(VALU_DEP_2)
	v_mul_f64_e32 v[34:35], s[2:3], v[34:35]
	s_wait_loadcnt 0x0
	v_mul_f32_e32 v4, v7, v9
	v_mul_f32_e32 v0, v7, v8
	v_fmac_f32_e32 v4, v6, v8
	s_delay_alu instid0(VALU_DEP_2) | instskip(SKIP_4) | instid1(VALU_DEP_2)
	v_fma_f32 v6, v6, v9, -v0
	ds_load_2addr_stride64_b64 v[7:10], v149 offset0:24 offset1:26
	s_wait_dscnt 0x0
	v_mul_f32_e32 v12, v14, v8
	v_mul_f32_e32 v0, v14, v7
	v_dual_fmac_f32 v12, v13, v7 :: v_dual_mul_f32 v7, v19, v10
	s_delay_alu instid0(VALU_DEP_2) | instskip(SKIP_1) | instid1(VALU_DEP_3)
	v_fma_f32 v14, v13, v8, -v0
	v_mul_f32_e32 v0, v19, v9
	v_fmac_f32_e32 v7, v18, v9
	scratch_load_b64 v[8:9], off, off offset:216 th:TH_LOAD_LU ; 8-byte Folded Reload
	v_fma_f32 v10, v18, v10, -v0
	ds_load_2addr_stride64_b64 v[18:21], v149 offset0:36 offset1:38
	s_wait_loadcnt_dscnt 0x0
	v_mul_f32_e32 v38, v9, v19
	v_mul_f32_e32 v0, v9, v18
	s_delay_alu instid0(VALU_DEP_2) | instskip(NEXT) | instid1(VALU_DEP_2)
	v_fmac_f32_e32 v38, v8, v18
	v_fma_f32 v40, v8, v19, -v0
	scratch_load_b64 v[18:19], off, off offset:232 th:TH_LOAD_LU ; 8-byte Folded Reload
	s_wait_loadcnt 0x0
	v_mul_f32_e32 v8, v19, v21
	v_mul_f32_e32 v0, v19, v20
	s_delay_alu instid0(VALU_DEP_2) | instskip(NEXT) | instid1(VALU_DEP_2)
	v_fmac_f32_e32 v8, v18, v20
	v_fma_f32 v9, v18, v21, -v0
	ds_load_2addr_stride64_b64 v[18:21], v149 offset0:48 offset1:50
	s_wait_dscnt 0x0
	v_mul_f32_e32 v22, v24, v19
	v_mul_f32_e32 v0, v24, v18
	scratch_load_b64 v[24:25], off, off offset:152 th:TH_LOAD_LU ; 8-byte Folded Reload
	v_fmac_f32_e32 v22, v23, v18
	v_fma_f32 v23, v23, v19, -v0
	scratch_load_b64 v[18:19], off, off offset:168 th:TH_LOAD_LU ; 8-byte Folded Reload
	s_wait_loadcnt 0x0
	v_mul_f32_e32 v13, v19, v21
	v_mul_f32_e32 v0, v19, v20
	s_delay_alu instid0(VALU_DEP_2) | instskip(NEXT) | instid1(VALU_DEP_2)
	v_fmac_f32_e32 v13, v18, v20
	v_fma_f32 v16, v18, v21, -v0
	ds_load_2addr_stride64_b64 v[18:21], v149 offset0:4 offset1:6
	v_cvt_f64_f32_e32 v[16:17], v16
	s_wait_dscnt 0x0
	v_mul_f32_e32 v30, v25, v21
	v_mul_f32_e32 v0, v25, v20
	s_delay_alu instid0(VALU_DEP_2) | instskip(NEXT) | instid1(VALU_DEP_2)
	v_fmac_f32_e32 v30, v24, v20
	v_fma_f32 v32, v24, v21, -v0
	scratch_load_b64 v[20:21], off, off offset:160 th:TH_LOAD_LU ; 8-byte Folded Reload
	ds_load_2addr_stride64_b64 v[24:27], v149 offset0:8 offset1:10
	v_cvt_f64_f32_e32 v[30:31], v30
	v_cvt_f64_f32_e32 v[32:33], v32
	v_mul_f64_e32 v[16:17], s[2:3], v[16:17]
	s_delay_alu instid0(VALU_DEP_3) | instskip(NEXT) | instid1(VALU_DEP_3)
	v_mul_f64_e32 v[30:31], s[2:3], v[30:31]
	v_mul_f64_e32 v[32:33], s[2:3], v[32:33]
	s_delay_alu instid0(VALU_DEP_2) | instskip(NEXT) | instid1(VALU_DEP_2)
	v_cvt_f32_f64_e32 v30, v[30:31]
	v_cvt_f32_f64_e32 v31, v[32:33]
	s_wait_loadcnt 0x0
	v_mul_f32_e32 v11, v21, v19
	v_mul_f32_e32 v0, v21, v18
	s_delay_alu instid0(VALU_DEP_2) | instskip(NEXT) | instid1(VALU_DEP_2)
	v_fmac_f32_e32 v11, v20, v18
	v_fma_f32 v18, v20, v19, -v0
	scratch_load_b64 v[19:20], off, off offset:120 th:TH_LOAD_LU ; 8-byte Folded Reload
	s_wait_loadcnt_dscnt 0x0
	v_mul_f32_e32 v46, v20, v25
	v_mul_f32_e32 v0, v20, v24
	s_delay_alu instid0(VALU_DEP_2) | instskip(NEXT) | instid1(VALU_DEP_2)
	v_fmac_f32_e32 v46, v19, v24
	v_fma_f32 v47, v19, v25, -v0
	scratch_load_b64 v[24:25], off, off offset:128 th:TH_LOAD_LU ; 8-byte Folded Reload
	s_wait_loadcnt 0x0
	v_mul_f32_e32 v20, v25, v27
	v_mul_f32_e32 v0, v25, v26
	s_delay_alu instid0(VALU_DEP_2) | instskip(NEXT) | instid1(VALU_DEP_2)
	v_fmac_f32_e32 v20, v24, v26
	v_fma_f32 v19, v24, v27, -v0
	ds_load_2addr_stride64_b64 v[24:27], v149 offset0:16 offset1:18
	s_wait_dscnt 0x0
	v_mul_f32_e32 v36, v29, v27
	v_mul_f32_e32 v0, v29, v26
	s_delay_alu instid0(VALU_DEP_2) | instskip(NEXT) | instid1(VALU_DEP_2)
	v_fmac_f32_e32 v36, v28, v26
	v_fma_f32 v37, v28, v27, -v0
	s_clause 0x1
	scratch_load_b64 v[26:27], off, off offset:144 th:TH_LOAD_LU
	scratch_load_b64 v[28:29], off, off offset:80 th:TH_LOAD_LU
	v_cvt_f64_f32_e32 v[32:33], v37
	s_delay_alu instid0(VALU_DEP_1) | instskip(SKIP_3) | instid1(VALU_DEP_2)
	v_mul_f64_e32 v[32:33], s[2:3], v[32:33]
	s_wait_loadcnt 0x1
	v_mul_f32_e32 v21, v27, v25
	v_mul_f32_e32 v0, v27, v24
	v_fmac_f32_e32 v21, v26, v24
	s_delay_alu instid0(VALU_DEP_2) | instskip(SKIP_4) | instid1(VALU_DEP_2)
	v_fma_f32 v54, v26, v25, -v0
	ds_load_2addr_stride64_b64 v[24:27], v149 offset0:20 offset1:22
	s_wait_loadcnt_dscnt 0x0
	v_mul_f32_e32 v48, v29, v25
	v_mul_f32_e32 v0, v29, v24
	v_fmac_f32_e32 v48, v28, v24
	s_delay_alu instid0(VALU_DEP_2)
	v_fma_f32 v49, v28, v25, -v0
	s_clause 0x1
	scratch_load_b64 v[24:25], off, off offset:88 th:TH_LOAD_LU
	scratch_load_b64 v[28:29], off, off offset:96 th:TH_LOAD_LU
	s_wait_loadcnt 0x1
	v_mul_f32_e32 v55, v25, v27
	v_mul_f32_e32 v0, v25, v26
	s_delay_alu instid0(VALU_DEP_2) | instskip(NEXT) | instid1(VALU_DEP_2)
	v_fmac_f32_e32 v55, v24, v26
	v_fma_f32 v56, v24, v27, -v0
	ds_load_2addr_stride64_b64 v[24:27], v149 offset0:28 offset1:30
	s_wait_loadcnt_dscnt 0x0
	v_mul_f32_e32 v39, v29, v27
	v_mul_f32_e32 v0, v29, v26
	s_delay_alu instid0(VALU_DEP_2) | instskip(NEXT) | instid1(VALU_DEP_2)
	v_fmac_f32_e32 v39, v28, v26
	v_fma_f32 v41, v28, v27, -v0
	s_clause 0x1
	scratch_load_b64 v[26:27], off, off offset:104 th:TH_LOAD_LU
	scratch_load_b64 v[28:29], off, off offset:112 th:TH_LOAD_LU
	s_wait_loadcnt 0x1
	v_mul_f32_e32 v57, v27, v25
	v_mul_f32_e32 v0, v27, v24
	s_delay_alu instid0(VALU_DEP_2) | instskip(NEXT) | instid1(VALU_DEP_2)
	v_fmac_f32_e32 v57, v26, v24
	v_fma_f32 v58, v26, v25, -v0
	ds_load_2addr_stride64_b64 v[24:27], v149 offset0:32 offset1:34
	s_wait_loadcnt_dscnt 0x0
	v_mul_f32_e32 v50, v29, v25
	v_mul_f32_e32 v0, v29, v24
	s_delay_alu instid0(VALU_DEP_2) | instskip(NEXT) | instid1(VALU_DEP_2)
	v_fmac_f32_e32 v50, v28, v24
	;; [unrolled: 16-line block ×6, first 2 shown]
	v_fma_f32 v68, v28, v25, -v0
	scratch_load_b64 v[24:25], off, off offset:32 th:TH_LOAD_LU ; 8-byte Folded Reload
	s_wait_loadcnt 0x0
	v_mul_f32_e32 v69, v25, v27
	v_mul_f32_e32 v0, v25, v26
	s_delay_alu instid0(VALU_DEP_2) | instskip(NEXT) | instid1(VALU_DEP_2)
	v_fmac_f32_e32 v69, v24, v26
	v_fma_f32 v70, v24, v27, -v0
	scratch_load_b64 v[26:27], off, off th:TH_LOAD_LU ; 8-byte Folded Reload
	s_wait_loadcnt 0x0
	v_mad_co_u64_u32 v[24:25], null, s6, v26, 0
	s_delay_alu instid0(VALU_DEP_1) | instskip(NEXT) | instid1(VALU_DEP_1)
	v_mov_b32_e32 v0, v25
	v_mad_co_u64_u32 v[25:26], null, s7, v26, v[0:1]
	v_mad_co_u64_u32 v[26:27], null, s4, v200, 0
	s_delay_alu instid0(VALU_DEP_2) | instskip(NEXT) | instid1(VALU_DEP_2)
	v_lshlrev_b64_e32 v[24:25], 3, v[24:25]
	v_mov_b32_e32 v0, v27
	s_delay_alu instid0(VALU_DEP_1) | instskip(SKIP_3) | instid1(VALU_DEP_4)
	v_mad_co_u64_u32 v[27:28], null, s5, v200, v[0:1]
	v_cvt_f64_f32_e32 v[0:1], v1
	v_cvt_f64_f32_e32 v[28:29], v2
	v_add_co_u32 v2, vcc_lo, s0, v24
	v_lshlrev_b64_e32 v[26:27], 3, v[26:27]
	s_delay_alu instid0(VALU_DEP_4) | instskip(NEXT) | instid1(VALU_DEP_4)
	v_mul_f64_e32 v[0:1], s[2:3], v[0:1]
	v_mul_f64_e32 v[28:29], s[2:3], v[28:29]
	s_delay_alu instid0(VALU_DEP_2) | instskip(NEXT) | instid1(VALU_DEP_2)
	v_cvt_f32_f64_e32 v0, v[0:1]
	v_cvt_f32_f64_e32 v1, v[28:29]
	v_cvt_f64_f32_e32 v[28:29], v15
	s_wait_alu 0xfffd
	v_add_co_ci_u32_e32 v15, vcc_lo, s1, v25, vcc_lo
	v_add_co_u32 v24, vcc_lo, v2, v26
	s_mul_u64 s[0:1], s[4:5], 0xc00
	s_wait_alu 0xfffd
	s_delay_alu instid0(VALU_DEP_2)
	v_add_co_ci_u32_e32 v25, vcc_lo, v15, v27, vcc_lo
	v_cvt_f64_f32_e32 v[26:27], v36
	v_cvt_f64_f32_e32 v[36:37], v12
	;; [unrolled: 1-line block ×5, first 2 shown]
	s_mulk_i32 s5, 0x9800
	s_wait_alu 0xfffe
	s_sub_co_i32 s5, s5, s4
	global_store_b64 v[24:25], v[0:1], off
	v_mul_f64_e32 v[28:29], s[2:3], v[28:29]
	v_add_co_u32 v0, vcc_lo, v24, s0
	s_wait_alu 0xfffd
	v_add_co_ci_u32_e32 v1, vcc_lo, s1, v25, vcc_lo
	v_cvt_f32_f64_e32 v25, v[34:35]
	v_cvt_f64_f32_e32 v[34:35], v41
	v_cvt_f64_f32_e32 v[40:41], v40
	global_store_b64 v[0:1], v[30:31], off
	v_cvt_f64_f32_e32 v[30:31], v42
	v_cvt_f64_f32_e32 v[42:43], v43
	v_mul_f64_e32 v[26:27], s[2:3], v[26:27]
	v_mul_f64_e32 v[36:37], s[2:3], v[36:37]
	;; [unrolled: 1-line block ×3, first 2 shown]
	v_add_co_u32 v0, vcc_lo, v0, s0
	s_wait_alu 0xfffd
	v_add_co_ci_u32_e32 v1, vcc_lo, s1, v1, vcc_lo
	v_mul_f64_e32 v[2:3], s[2:3], v[2:3]
	v_mul_f64_e32 v[12:13], s[2:3], v[12:13]
	v_cvt_f32_f64_e32 v24, v[28:29]
	v_cvt_f64_f32_e32 v[28:29], v39
	v_cvt_f64_f32_e32 v[38:39], v38
	v_mul_f64_e32 v[34:35], s[2:3], v[34:35]
	v_mul_f64_e32 v[40:41], s[2:3], v[40:41]
	;; [unrolled: 1-line block ×4, first 2 shown]
	v_cvt_f32_f64_e32 v26, v[26:27]
	v_cvt_f32_f64_e32 v27, v[32:33]
	v_cvt_f64_f32_e32 v[32:33], v44
	v_cvt_f32_f64_e32 v2, v[2:3]
	v_cvt_f32_f64_e32 v12, v[12:13]
	;; [unrolled: 1-line block ×3, first 2 shown]
	v_cvt_f64_f32_e32 v[16:17], v63
	global_store_b64 v[0:1], v[24:25], off
	v_mul_f64_e32 v[28:29], s[2:3], v[28:29]
	v_mul_f64_e32 v[38:39], s[2:3], v[38:39]
	v_cvt_f32_f64_e32 v24, v[36:37]
	v_cvt_f32_f64_e32 v25, v[14:15]
	v_cvt_f64_f32_e32 v[14:15], v22
	v_cvt_f64_f32_e32 v[22:23], v23
	;; [unrolled: 1-line block ×5, first 2 shown]
	v_cvt_f32_f64_e32 v30, v[30:31]
	v_cvt_f32_f64_e32 v31, v[42:43]
	v_cvt_f64_f32_e32 v[42:43], v48
	v_cvt_f64_f32_e32 v[48:49], v49
	v_add_co_u32 v0, vcc_lo, v0, s0
	v_mul_f64_e32 v[32:33], s[2:3], v[32:33]
	s_wait_alu 0xfffd
	v_add_co_ci_u32_e32 v1, vcc_lo, s1, v1, vcc_lo
	v_mul_f64_e32 v[16:17], s[2:3], v[16:17]
	global_store_b64 v[0:1], v[26:27], off
	v_add_co_u32 v0, vcc_lo, v0, s0
	s_wait_alu 0xfffd
	v_add_co_ci_u32_e32 v1, vcc_lo, s1, v1, vcc_lo
	v_cvt_f32_f64_e32 v28, v[28:29]
	v_cvt_f32_f64_e32 v29, v[34:35]
	;; [unrolled: 1-line block ×4, first 2 shown]
	v_cvt_f64_f32_e32 v[38:39], v46
	v_cvt_f64_f32_e32 v[40:41], v47
	;; [unrolled: 1-line block ×3, first 2 shown]
	v_mul_f64_e32 v[14:15], s[2:3], v[14:15]
	v_mul_f64_e32 v[22:23], s[2:3], v[22:23]
	;; [unrolled: 1-line block ×5, first 2 shown]
	global_store_b64 v[0:1], v[24:25], off
	v_mul_f64_e32 v[24:25], s[2:3], v[42:43]
	v_mul_f64_e32 v[42:43], s[2:3], v[48:49]
	v_cvt_f64_f32_e32 v[6:7], v7
	v_add_co_u32 v0, vcc_lo, v0, s0
	s_wait_alu 0xfffd
	v_add_co_ci_u32_e32 v1, vcc_lo, s1, v1, vcc_lo
	v_cvt_f32_f64_e32 v16, v[16:17]
	s_delay_alu instid0(VALU_DEP_3) | instskip(SKIP_1) | instid1(VALU_DEP_3)
	v_add_co_u32 v48, vcc_lo, v0, s0
	s_wait_alu 0xfffd
	v_add_co_ci_u32_e32 v49, vcc_lo, s1, v1, vcc_lo
	global_store_b64 v[0:1], v[28:29], off
	v_cvt_f64_f32_e32 v[28:29], v50
	v_add_co_u32 v0, vcc_lo, v48, s0
	v_mul_f64_e32 v[26:27], s[2:3], v[38:39]
	v_mul_f64_e32 v[38:39], s[2:3], v[40:41]
	;; [unrolled: 1-line block ×3, first 2 shown]
	v_cvt_f64_f32_e32 v[46:47], v10
	v_cvt_f32_f64_e32 v14, v[14:15]
	v_cvt_f32_f64_e32 v15, v[22:23]
	;; [unrolled: 1-line block ×5, first 2 shown]
	v_cvt_f64_f32_e32 v[32:33], v51
	v_cvt_f64_f32_e32 v[36:37], v8
	;; [unrolled: 1-line block ×5, first 2 shown]
	s_wait_alu 0xfffd
	v_add_co_ci_u32_e32 v1, vcc_lo, s1, v49, vcc_lo
	v_add_co_u32 v52, vcc_lo, v0, s0
	v_cvt_f32_f64_e32 v4, v[4:5]
	s_wait_alu 0xfffd
	s_delay_alu instid0(VALU_DEP_3)
	v_add_co_ci_u32_e32 v53, vcc_lo, s1, v1, vcc_lo
	v_cvt_f32_f64_e32 v24, v[24:25]
	v_cvt_f32_f64_e32 v25, v[42:43]
	v_mul_f64_e32 v[6:7], s[2:3], v[6:7]
	global_store_b64 v[48:49], v[34:35], off
	global_store_b64 v[0:1], v[30:31], off
	v_cvt_f64_f32_e32 v[10:11], v11
	v_cvt_f64_f32_e32 v[48:49], v64
	v_cvt_f32_f64_e32 v26, v[26:27]
	v_cvt_f32_f64_e32 v27, v[38:39]
	;; [unrolled: 1-line block ×3, first 2 shown]
	v_add_co_u32 v38, vcc_lo, v52, s0
	s_wait_alu 0xfffd
	v_add_co_ci_u32_e32 v39, vcc_lo, s1, v53, vcc_lo
	v_mul_f64_e32 v[40:41], s[2:3], v[46:47]
	global_store_b64 v[52:53], v[14:15], off
	v_mul_f64_e32 v[14:15], s[2:3], v[28:29]
	v_mad_co_u64_u32 v[42:43], null, 0xffff9800, s4, v[38:39]
	v_mul_f64_e32 v[28:29], s[2:3], v[32:33]
	v_mul_f64_e32 v[30:31], s[2:3], v[36:37]
	;; [unrolled: 1-line block ×5, first 2 shown]
	global_store_b64 v[38:39], v[22:23], off
	s_wait_alu 0xfffe
	v_add_nc_u32_e32 v43, s5, v43
	v_add_co_u32 v0, vcc_lo, v42, s0
	v_cvt_f64_f32_e32 v[38:39], v56
	v_cvt_f64_f32_e32 v[44:45], v62
	s_wait_alu 0xfffd
	v_add_co_ci_u32_e32 v1, vcc_lo, s1, v43, vcc_lo
	v_add_co_u32 v36, vcc_lo, v0, s0
	v_cvt_f64_f32_e32 v[50:51], v65
	s_wait_alu 0xfffd
	s_delay_alu instid0(VALU_DEP_3) | instskip(NEXT) | instid1(VALU_DEP_3)
	v_add_co_ci_u32_e32 v37, vcc_lo, s1, v1, vcc_lo
	v_add_co_u32 v22, vcc_lo, v36, s0
	v_cvt_f64_f32_e32 v[52:53], v66
	s_wait_alu 0xfffd
	s_delay_alu instid0(VALU_DEP_3)
	v_add_co_ci_u32_e32 v23, vcc_lo, s1, v37, vcc_lo
	global_store_b64 v[42:43], v[2:3], off
	global_store_b64 v[0:1], v[26:27], off
	;; [unrolled: 1-line block ×4, first 2 shown]
	v_cvt_f64_f32_e32 v[2:3], v67
	v_cvt_f64_f32_e32 v[4:5], v68
	v_cvt_f32_f64_e32 v0, v[6:7]
	v_add_co_u32 v6, vcc_lo, v22, s0
	s_wait_alu 0xfffd
	v_add_co_ci_u32_e32 v7, vcc_lo, s1, v23, vcc_lo
	v_cvt_f64_f32_e32 v[22:23], v18
	v_cvt_f64_f32_e32 v[24:25], v20
	;; [unrolled: 1-line block ×5, first 2 shown]
	v_cvt_f32_f64_e32 v1, v[40:41]
	v_cvt_f64_f32_e32 v[36:37], v55
	v_cvt_f64_f32_e32 v[40:41], v57
	;; [unrolled: 1-line block ×3, first 2 shown]
	v_cvt_f32_f64_e32 v14, v[14:15]
	v_cvt_f32_f64_e32 v15, v[28:29]
	;; [unrolled: 1-line block ×4, first 2 shown]
	v_cvt_f64_f32_e32 v[8:9], v59
	v_cvt_f64_f32_e32 v[30:31], v60
	v_cvt_f32_f64_e32 v32, v[32:33]
	v_cvt_f32_f64_e32 v33, v[34:35]
	v_cvt_f64_f32_e32 v[34:35], v61
	v_cvt_f64_f32_e32 v[54:55], v69
	;; [unrolled: 1-line block ×3, first 2 shown]
	v_mul_f64_e32 v[10:11], s[2:3], v[10:11]
	v_add_co_u32 v46, vcc_lo, v6, s0
	s_wait_alu 0xfffd
	v_add_co_ci_u32_e32 v47, vcc_lo, s1, v7, vcc_lo
	v_mul_f64_e32 v[38:39], s[2:3], v[38:39]
	s_delay_alu instid0(VALU_DEP_3) | instskip(SKIP_1) | instid1(VALU_DEP_3)
	v_add_co_u32 v58, vcc_lo, v46, s0
	s_wait_alu 0xfffd
	v_add_co_ci_u32_e32 v59, vcc_lo, s1, v47, vcc_lo
	v_mul_f64_e32 v[2:3], s[2:3], v[2:3]
	v_mul_f64_e32 v[4:5], s[2:3], v[4:5]
	v_add_co_u32 v60, vcc_lo, v58, s0
	s_wait_alu 0xfffd
	v_add_co_ci_u32_e32 v61, vcc_lo, s1, v59, vcc_lo
	global_store_b64 v[6:7], v[0:1], off
	global_store_b64 v[46:47], v[14:15], off
	;; [unrolled: 1-line block ×4, first 2 shown]
	v_mul_f64_e32 v[22:23], s[2:3], v[22:23]
	v_mul_f64_e32 v[24:25], s[2:3], v[24:25]
	;; [unrolled: 1-line block ×17, first 2 shown]
	v_add_co_u32 v14, vcc_lo, v60, s0
	v_cvt_f32_f64_e32 v2, v[2:3]
	v_cvt_f32_f64_e32 v3, v[4:5]
	s_wait_alu 0xfffd
	v_add_co_ci_u32_e32 v15, vcc_lo, s1, v61, vcc_lo
	v_add_co_u32 v4, vcc_lo, v14, s0
	v_cvt_f32_f64_e32 v10, v[10:11]
	s_wait_alu 0xfffd
	s_delay_alu instid0(VALU_DEP_3)
	v_add_co_ci_u32_e32 v5, vcc_lo, s1, v15, vcc_lo
	global_store_b64 v[14:15], v[12:13], off
	v_mad_co_u64_u32 v[14:15], null, 0xffff9800, s4, v[4:5]
	v_cvt_f32_f64_e32 v11, v[22:23]
	v_cvt_f32_f64_e32 v12, v[24:25]
	;; [unrolled: 1-line block ×5, first 2 shown]
	v_add_nc_u32_e32 v15, s5, v15
	v_add_co_u32 v24, vcc_lo, v14, s0
	v_cvt_f32_f64_e32 v20, v[36:37]
	v_cvt_f32_f64_e32 v21, v[38:39]
	;; [unrolled: 1-line block ×4, first 2 shown]
	s_wait_alu 0xfffd
	v_add_co_ci_u32_e32 v25, vcc_lo, s1, v15, vcc_lo
	v_cvt_f32_f64_e32 v8, v[8:9]
	v_cvt_f32_f64_e32 v9, v[30:31]
	;; [unrolled: 1-line block ×4, first 2 shown]
	v_add_co_u32 v6, vcc_lo, v24, s0
	s_wait_alu 0xfffd
	v_add_co_ci_u32_e32 v7, vcc_lo, s1, v25, vcc_lo
	v_cvt_f32_f64_e32 v17, v[28:29]
	v_cvt_f32_f64_e32 v26, v[32:33]
	;; [unrolled: 1-line block ×5, first 2 shown]
	v_add_co_u32 v30, vcc_lo, v6, s0
	s_wait_alu 0xfffd
	v_add_co_ci_u32_e32 v31, vcc_lo, s1, v7, vcc_lo
	global_store_b64 v[4:5], v[2:3], off
	v_add_co_u32 v2, vcc_lo, v30, s0
	s_wait_alu 0xfffd
	v_add_co_ci_u32_e32 v3, vcc_lo, s1, v31, vcc_lo
	s_delay_alu instid0(VALU_DEP_2) | instskip(SKIP_1) | instid1(VALU_DEP_2)
	v_add_co_u32 v4, vcc_lo, v2, s0
	s_wait_alu 0xfffd
	v_add_co_ci_u32_e32 v5, vcc_lo, s1, v3, vcc_lo
	global_store_b64 v[14:15], v[10:11], off
	v_add_co_u32 v10, vcc_lo, v4, s0
	s_wait_alu 0xfffd
	v_add_co_ci_u32_e32 v11, vcc_lo, s1, v5, vcc_lo
	global_store_b64 v[24:25], v[12:13], off
	global_store_b64 v[6:7], v[18:19], off
	v_add_co_u32 v6, vcc_lo, v10, s0
	s_wait_alu 0xfffd
	v_add_co_ci_u32_e32 v7, vcc_lo, s1, v11, vcc_lo
	global_store_b64 v[30:31], v[20:21], off
	v_add_co_u32 v12, vcc_lo, v6, s0
	s_wait_alu 0xfffd
	v_add_co_ci_u32_e32 v13, vcc_lo, s1, v7, vcc_lo
	;; [unrolled: 4-line block ×3, first 2 shown]
	global_store_b64 v[4:5], v[8:9], off
	global_store_b64 v[10:11], v[0:1], off
	;; [unrolled: 1-line block ×5, first 2 shown]
.LBB0_2:
	s_nop 0
	s_sendmsg sendmsg(MSG_DEALLOC_VGPRS)
	s_endpgm
	.section	.rodata,"a",@progbits
	.p2align	6, 0x0
	.amdhsa_kernel bluestein_single_back_len3840_dim1_sp_op_CI_CI
		.amdhsa_group_segment_fixed_size 30720
		.amdhsa_private_segment_fixed_size 752
		.amdhsa_kernarg_size 104
		.amdhsa_user_sgpr_count 2
		.amdhsa_user_sgpr_dispatch_ptr 0
		.amdhsa_user_sgpr_queue_ptr 0
		.amdhsa_user_sgpr_kernarg_segment_ptr 1
		.amdhsa_user_sgpr_dispatch_id 0
		.amdhsa_user_sgpr_private_segment_size 0
		.amdhsa_wavefront_size32 1
		.amdhsa_uses_dynamic_stack 0
		.amdhsa_enable_private_segment 1
		.amdhsa_system_sgpr_workgroup_id_x 1
		.amdhsa_system_sgpr_workgroup_id_y 0
		.amdhsa_system_sgpr_workgroup_id_z 0
		.amdhsa_system_sgpr_workgroup_info 0
		.amdhsa_system_vgpr_workitem_id 0
		.amdhsa_next_free_vgpr 256
		.amdhsa_next_free_sgpr 20
		.amdhsa_reserve_vcc 1
		.amdhsa_float_round_mode_32 0
		.amdhsa_float_round_mode_16_64 0
		.amdhsa_float_denorm_mode_32 3
		.amdhsa_float_denorm_mode_16_64 3
		.amdhsa_fp16_overflow 0
		.amdhsa_workgroup_processor_mode 1
		.amdhsa_memory_ordered 1
		.amdhsa_forward_progress 0
		.amdhsa_round_robin_scheduling 0
		.amdhsa_exception_fp_ieee_invalid_op 0
		.amdhsa_exception_fp_denorm_src 0
		.amdhsa_exception_fp_ieee_div_zero 0
		.amdhsa_exception_fp_ieee_overflow 0
		.amdhsa_exception_fp_ieee_underflow 0
		.amdhsa_exception_fp_ieee_inexact 0
		.amdhsa_exception_int_div_zero 0
	.end_amdhsa_kernel
	.text
.Lfunc_end0:
	.size	bluestein_single_back_len3840_dim1_sp_op_CI_CI, .Lfunc_end0-bluestein_single_back_len3840_dim1_sp_op_CI_CI
                                        ; -- End function
	.section	.AMDGPU.csdata,"",@progbits
; Kernel info:
; codeLenInByte = 40460
; NumSgprs: 22
; NumVgprs: 256
; ScratchSize: 752
; MemoryBound: 0
; FloatMode: 240
; IeeeMode: 1
; LDSByteSize: 30720 bytes/workgroup (compile time only)
; SGPRBlocks: 2
; VGPRBlocks: 31
; NumSGPRsForWavesPerEU: 22
; NumVGPRsForWavesPerEU: 256
; Occupancy: 4
; WaveLimiterHint : 1
; COMPUTE_PGM_RSRC2:SCRATCH_EN: 1
; COMPUTE_PGM_RSRC2:USER_SGPR: 2
; COMPUTE_PGM_RSRC2:TRAP_HANDLER: 0
; COMPUTE_PGM_RSRC2:TGID_X_EN: 1
; COMPUTE_PGM_RSRC2:TGID_Y_EN: 0
; COMPUTE_PGM_RSRC2:TGID_Z_EN: 0
; COMPUTE_PGM_RSRC2:TIDIG_COMP_CNT: 0
	.text
	.p2alignl 7, 3214868480
	.fill 96, 4, 3214868480
	.type	__hip_cuid_152b8ebbe675aef7,@object ; @__hip_cuid_152b8ebbe675aef7
	.section	.bss,"aw",@nobits
	.globl	__hip_cuid_152b8ebbe675aef7
__hip_cuid_152b8ebbe675aef7:
	.byte	0                               ; 0x0
	.size	__hip_cuid_152b8ebbe675aef7, 1

	.ident	"AMD clang version 19.0.0git (https://github.com/RadeonOpenCompute/llvm-project roc-6.4.0 25133 c7fe45cf4b819c5991fe208aaa96edf142730f1d)"
	.section	".note.GNU-stack","",@progbits
	.addrsig
	.addrsig_sym __hip_cuid_152b8ebbe675aef7
	.amdgpu_metadata
---
amdhsa.kernels:
  - .args:
      - .actual_access:  read_only
        .address_space:  global
        .offset:         0
        .size:           8
        .value_kind:     global_buffer
      - .actual_access:  read_only
        .address_space:  global
        .offset:         8
        .size:           8
        .value_kind:     global_buffer
      - .actual_access:  read_only
        .address_space:  global
        .offset:         16
        .size:           8
        .value_kind:     global_buffer
      - .actual_access:  read_only
        .address_space:  global
        .offset:         24
        .size:           8
        .value_kind:     global_buffer
      - .actual_access:  read_only
        .address_space:  global
        .offset:         32
        .size:           8
        .value_kind:     global_buffer
      - .offset:         40
        .size:           8
        .value_kind:     by_value
      - .address_space:  global
        .offset:         48
        .size:           8
        .value_kind:     global_buffer
      - .address_space:  global
        .offset:         56
        .size:           8
        .value_kind:     global_buffer
      - .address_space:  global
        .offset:         64
        .size:           8
        .value_kind:     global_buffer
      - .address_space:  global
        .offset:         72
        .size:           8
        .value_kind:     global_buffer
      - .offset:         80
        .size:           4
        .value_kind:     by_value
      - .address_space:  global
        .offset:         88
        .size:           8
        .value_kind:     global_buffer
      - .address_space:  global
        .offset:         96
        .size:           8
        .value_kind:     global_buffer
    .group_segment_fixed_size: 30720
    .kernarg_segment_align: 8
    .kernarg_segment_size: 104
    .language:       OpenCL C
    .language_version:
      - 2
      - 0
    .max_flat_workgroup_size: 128
    .name:           bluestein_single_back_len3840_dim1_sp_op_CI_CI
    .private_segment_fixed_size: 752
    .sgpr_count:     22
    .sgpr_spill_count: 0
    .symbol:         bluestein_single_back_len3840_dim1_sp_op_CI_CI.kd
    .uniform_work_group_size: 1
    .uses_dynamic_stack: false
    .vgpr_count:     256
    .vgpr_spill_count: 187
    .wavefront_size: 32
    .workgroup_processor_mode: 1
amdhsa.target:   amdgcn-amd-amdhsa--gfx1201
amdhsa.version:
  - 1
  - 2
...

	.end_amdgpu_metadata
